;; amdgpu-corpus repo=ROCm/rocFFT kind=compiled arch=gfx90a opt=O3
	.text
	.amdgcn_target "amdgcn-amd-amdhsa--gfx90a"
	.amdhsa_code_object_version 6
	.protected	bluestein_single_fwd_len2401_dim1_dp_op_CI_CI ; -- Begin function bluestein_single_fwd_len2401_dim1_dp_op_CI_CI
	.globl	bluestein_single_fwd_len2401_dim1_dp_op_CI_CI
	.p2align	8
	.type	bluestein_single_fwd_len2401_dim1_dp_op_CI_CI,@function
bluestein_single_fwd_len2401_dim1_dp_op_CI_CI: ; @bluestein_single_fwd_len2401_dim1_dp_op_CI_CI
; %bb.0:
	s_load_dwordx4 s[12:15], s[4:5], 0x28
	s_mov_b64 s[42:43], s[2:3]
	s_mov_b64 s[40:41], s[0:1]
	v_mul_u32_u24_e32 v1, 0x53a, v0
	s_add_u32 s40, s40, s7
	v_add_u32_sdwa v2, s6, v1 dst_sel:DWORD dst_unused:UNUSED_PAD src0_sel:DWORD src1_sel:WORD_1
	v_mov_b32_e32 v3, 0
	s_addc_u32 s41, s41, 0
	s_waitcnt lgkmcnt(0)
	v_cmp_gt_u64_e32 vcc, s[12:13], v[2:3]
	s_and_saveexec_b64 s[0:1], vcc
	s_cbranch_execz .LBB0_2
; %bb.1:
	s_load_dwordx4 s[8:11], s[4:5], 0x0
	s_load_dwordx4 s[16:19], s[4:5], 0x18
	s_load_dwordx2 s[12:13], s[4:5], 0x38
	v_mov_b32_e32 v3, 49
	v_mul_lo_u16_sdwa v1, v1, v3 dst_sel:DWORD dst_unused:UNUSED_PAD src0_sel:WORD_1 src1_sel:DWORD
	v_sub_u16_e32 v216, v0, v1
	s_waitcnt lgkmcnt(0)
	s_load_dwordx4 s[4:7], s[16:17], 0x0
	s_load_dwordx4 s[0:3], s[18:19], 0x0
	v_lshlrev_b32_e32 v196, 4, v216
	s_movk_i32 s33, 0x1000
	s_movk_i32 s31, 0x2000
	v_mov_b32_e32 v197, 0x1570
	s_waitcnt lgkmcnt(0)
	v_mad_u64_u32 v[4:5], s[16:17], s2, v2, 0
	v_mov_b32_e32 v0, v5
	v_mad_u64_u32 v[0:1], s[2:3], s3, v2, v[0:1]
	v_mov_b32_e32 v5, v0
	buffer_store_dword v4, off, s[40:43], 0 offset:788 ; 4-byte Folded Spill
	s_nop 0
	buffer_store_dword v5, off, s[40:43], 0 offset:792 ; 4-byte Folded Spill
	global_load_dwordx4 v[10:13], v196, s[8:9]
	v_mad_u64_u32 v[0:1], s[2:3], s6, v2, 0
	v_mov_b32_e32 v4, v1
	s_movk_i32 s29, 0x4000
	s_movk_i32 s28, 0x5000
	;; [unrolled: 1-line block ×4, first 2 shown]
	s_mov_b32 s22, 0x37e14327
	s_mov_b32 s20, 0xaaaaaaaa
	;; [unrolled: 1-line block ×9, first 2 shown]
	s_movk_i32 s35, 0x2493
	v_mad_u64_u32 v[2:3], s[2:3], s7, v2, v[4:5]
	v_mov_b32_e32 v1, v2
	v_mad_u64_u32 v[2:3], s[2:3], s4, v216, 0
	v_mov_b32_e32 v4, v3
	v_mad_u64_u32 v[4:5], s[2:3], s5, v216, v[4:5]
	v_lshlrev_b64 v[0:1], 4, v[0:1]
	v_mov_b32_e32 v3, v4
	v_add_co_u32_e32 v4, vcc, s14, v0
	v_mov_b32_e32 v0, s15
	v_addc_co_u32_e32 v5, vcc, v0, v1, vcc
	v_lshlrev_b64 v[0:1], 4, v[2:3]
	v_add_co_u32_e32 v8, vcc, v4, v0
	v_addc_co_u32_e32 v9, vcc, v5, v1, vcc
	global_load_dwordx4 v[0:3], v[8:9], off
	s_waitcnt vmcnt(1)
	buffer_store_dword v10, off, s[40:43], 0 offset:4 ; 4-byte Folded Spill
	s_nop 0
	buffer_store_dword v11, off, s[40:43], 0 offset:8 ; 4-byte Folded Spill
	buffer_store_dword v12, off, s[40:43], 0 offset:12 ; 4-byte Folded Spill
	;; [unrolled: 1-line block ×3, first 2 shown]
	v_add_co_u32_e32 v18, vcc, s8, v196
	v_mov_b32_e32 v4, s9
	v_addc_co_u32_e32 v22, vcc, 0, v4, vcc
	v_mov_b32_e32 v27, v22
	v_accvgpr_write_b32 a32, v27
	s_mov_b32 s14, 0xb247c609
	s_mov_b32 s15, 0x3fd5d0dc
	;; [unrolled: 1-line block ×3, first 2 shown]
	s_waitcnt vmcnt(4)
	v_mul_f64 v[4:5], v[2:3], v[12:13]
	v_fmac_f64_e32 v[4:5], v[0:1], v[10:11]
	v_mul_f64 v[0:1], v[0:1], v[12:13]
	v_fma_f64 v[6:7], v[2:3], v[10:11], -v[0:1]
	v_mov_b32_e32 v0, 0x1570
	v_mad_u64_u32 v[10:11], s[2:3], s4, v0, v[8:9]
	v_add_co_u32_e32 v8, vcc, s33, v18
	v_addc_co_u32_e32 v9, vcc, 0, v22, vcc
	global_load_dwordx4 v[12:15], v[8:9], off offset:1392
	s_mul_i32 s2, s5, 0x1570
	v_add_u32_e32 v11, s2, v11
	global_load_dwordx4 v[0:3], v[10:11], off
	ds_write_b128 v196, v[4:7]
	v_mad_u64_u32 v[10:11], s[6:7], s4, v197, v[10:11]
	v_add_u32_e32 v11, s2, v11
	s_movk_i32 s3, 0x6000
	s_waitcnt vmcnt(1)
	buffer_store_dword v12, off, s[40:43], 0 offset:20 ; 4-byte Folded Spill
	s_nop 0
	buffer_store_dword v13, off, s[40:43], 0 offset:24 ; 4-byte Folded Spill
	buffer_store_dword v14, off, s[40:43], 0 offset:28 ; 4-byte Folded Spill
	;; [unrolled: 1-line block ×3, first 2 shown]
	s_waitcnt vmcnt(4)
	v_mul_f64 v[4:5], v[2:3], v[14:15]
	v_fmac_f64_e32 v[4:5], v[0:1], v[12:13]
	v_mul_f64 v[0:1], v[0:1], v[14:15]
	v_fma_f64 v[6:7], v[2:3], v[12:13], -v[0:1]
	v_add_co_u32_e32 v12, vcc, s31, v18
	v_addc_co_u32_e32 v13, vcc, 0, v22, vcc
	global_load_dwordx4 v[14:17], v[12:13], off offset:2784
	global_load_dwordx4 v[0:3], v[10:11], off
	ds_write_b128 v196, v[4:7] offset:5488
	s_waitcnt vmcnt(1)
	buffer_store_dword v14, off, s[40:43], 0 offset:36 ; 4-byte Folded Spill
	s_nop 0
	buffer_store_dword v15, off, s[40:43], 0 offset:40 ; 4-byte Folded Spill
	buffer_store_dword v16, off, s[40:43], 0 offset:44 ; 4-byte Folded Spill
	;; [unrolled: 1-line block ×3, first 2 shown]
	s_waitcnt vmcnt(4)
	v_mul_f64 v[4:5], v[2:3], v[16:17]
	v_fmac_f64_e32 v[4:5], v[0:1], v[14:15]
	v_mul_f64 v[0:1], v[0:1], v[16:17]
	v_fma_f64 v[6:7], v[2:3], v[14:15], -v[0:1]
	ds_write_b128 v196, v[4:7] offset:10976
	v_mad_u64_u32 v[6:7], s[6:7], s4, v197, v[10:11]
	v_mov_b32_e32 v11, v18
	v_add_co_u32_e32 v0, vcc, s29, v11
	v_addc_co_u32_e32 v1, vcc, 0, v22, vcc
	global_load_dwordx4 v[16:19], v[0:1], off offset:80
	v_add_u32_e32 v7, s2, v7
	global_load_dwordx4 v[2:5], v[6:7], off
	v_add_co_u32_e32 v10, vcc, s28, v11
	v_mov_b32_e32 v23, v11
	v_addc_co_u32_e32 v11, vcc, 0, v22, vcc
	v_mad_u64_u32 v[6:7], s[6:7], s4, v197, v[6:7]
	v_add_u32_e32 v7, s2, v7
	v_mov_b32_e32 v26, v23
	v_mov_b32_e32 v28, v26
	;; [unrolled: 1-line block ×3, first 2 shown]
	v_accvgpr_write_b32 a65, v32
	s_waitcnt vmcnt(1)
	buffer_store_dword v16, off, s[40:43], 0 offset:52 ; 4-byte Folded Spill
	s_nop 0
	buffer_store_dword v17, off, s[40:43], 0 offset:56 ; 4-byte Folded Spill
	buffer_store_dword v18, off, s[40:43], 0 offset:60 ; 4-byte Folded Spill
	;; [unrolled: 1-line block ×3, first 2 shown]
	s_waitcnt vmcnt(4)
	v_mul_f64 v[14:15], v[4:5], v[18:19]
	v_fmac_f64_e32 v[14:15], v[2:3], v[16:17]
	v_mul_f64 v[2:3], v[2:3], v[18:19]
	v_fma_f64 v[16:17], v[4:5], v[16:17], -v[2:3]
	ds_write_b128 v196, v[14:17] offset:16464
	global_load_dwordx4 v[16:19], v[10:11], off offset:1472
	global_load_dwordx4 v[2:5], v[6:7], off
	s_waitcnt vmcnt(1)
	buffer_store_dword v16, off, s[40:43], 0 offset:68 ; 4-byte Folded Spill
	s_nop 0
	buffer_store_dword v17, off, s[40:43], 0 offset:72 ; 4-byte Folded Spill
	buffer_store_dword v18, off, s[40:43], 0 offset:76 ; 4-byte Folded Spill
	;; [unrolled: 1-line block ×3, first 2 shown]
	s_waitcnt vmcnt(4)
	v_mul_f64 v[14:15], v[4:5], v[18:19]
	v_fmac_f64_e32 v[14:15], v[2:3], v[16:17]
	v_mul_f64 v[2:3], v[2:3], v[18:19]
	v_fma_f64 v[16:17], v[4:5], v[16:17], -v[2:3]
	v_add_co_u32_e32 v4, vcc, s3, v26
	v_addc_co_u32_e32 v5, vcc, 0, v22, vcc
	global_load_dwordx4 v[20:23], v[4:5], off offset:2864
	v_mad_u64_u32 v[2:3], s[6:7], s4, v197, v[6:7]
	v_add_u32_e32 v3, s2, v3
	ds_write_b128 v196, v[14:17] offset:21952
	global_load_dwordx4 v[14:17], v[2:3], off
	s_mov_b32 s3, 0x8000
	s_waitcnt vmcnt(1)
	buffer_store_dword v20, off, s[40:43], 0 offset:84 ; 4-byte Folded Spill
	s_nop 0
	buffer_store_dword v21, off, s[40:43], 0 offset:88 ; 4-byte Folded Spill
	buffer_store_dword v22, off, s[40:43], 0 offset:92 ; 4-byte Folded Spill
	;; [unrolled: 1-line block ×3, first 2 shown]
	s_waitcnt vmcnt(4)
	v_mul_f64 v[18:19], v[16:17], v[22:23]
	v_mul_f64 v[6:7], v[14:15], v[22:23]
	v_fmac_f64_e32 v[18:19], v[14:15], v[20:21]
	v_fma_f64 v[20:21], v[16:17], v[20:21], -v[6:7]
	v_mad_u64_u32 v[6:7], s[6:7], s4, v197, v[2:3]
	v_add_co_u32_e32 v2, vcc, s3, v26
	v_addc_co_u32_e32 v3, vcc, 0, v27, vcc
	ds_write_b128 v196, v[18:21] offset:27440
	global_load_dwordx4 v[20:23], v[2:3], off offset:160
	v_add_u32_e32 v7, s2, v7
	global_load_dwordx4 v[14:17], v[6:7], off
	s_mul_i32 s3, s5, 0xffff8270
	s_sub_i32 s3, s3, s4
	v_mov_b32_e32 v26, 0xffff8270
	s_movk_i32 s5, 0x62
	v_add_co_u32_e32 v217, vcc, 49, v216
	v_add_co_u32_e32 v218, vcc, s5, v216
	s_movk_i32 s5, 0x93
	v_accvgpr_write_b32 a4, v217
	v_accvgpr_write_b32 a6, v218
	s_waitcnt vmcnt(1)
	buffer_store_dword v20, off, s[40:43], 0 offset:100 ; 4-byte Folded Spill
	s_nop 0
	buffer_store_dword v21, off, s[40:43], 0 offset:104 ; 4-byte Folded Spill
	buffer_store_dword v22, off, s[40:43], 0 offset:108 ; 4-byte Folded Spill
	;; [unrolled: 1-line block ×3, first 2 shown]
	s_waitcnt vmcnt(4)
	v_mul_f64 v[18:19], v[16:17], v[22:23]
	v_fmac_f64_e32 v[18:19], v[14:15], v[20:21]
	v_mul_f64 v[14:15], v[14:15], v[22:23]
	v_fma_f64 v[20:21], v[16:17], v[20:21], -v[14:15]
	v_mov_b32_e32 v14, 0xffff8270
	v_mad_u64_u32 v[6:7], s[6:7], s4, v14, v[6:7]
	ds_write_b128 v196, v[18:21] offset:32928
	v_add_u32_e32 v7, s3, v7
	global_load_dwordx4 v[14:17], v[6:7], off
	global_load_dwordx4 v[20:23], v196, s[8:9] offset:784
	v_mad_u64_u32 v[6:7], s[6:7], s4, v197, v[6:7]
	v_add_u32_e32 v7, s2, v7
	s_waitcnt vmcnt(0)
	buffer_store_dword v20, off, s[40:43], 0 offset:164 ; 4-byte Folded Spill
	s_nop 0
	buffer_store_dword v21, off, s[40:43], 0 offset:168 ; 4-byte Folded Spill
	buffer_store_dword v22, off, s[40:43], 0 offset:172 ; 4-byte Folded Spill
	buffer_store_dword v23, off, s[40:43], 0 offset:176 ; 4-byte Folded Spill
	v_mul_f64 v[18:19], v[16:17], v[22:23]
	v_fmac_f64_e32 v[18:19], v[14:15], v[20:21]
	v_mul_f64 v[14:15], v[14:15], v[22:23]
	v_fma_f64 v[20:21], v[16:17], v[20:21], -v[14:15]
	ds_write_b128 v196, v[18:21] offset:784
	global_load_dwordx4 v[14:17], v[6:7], off
	global_load_dwordx4 v[20:23], v[8:9], off offset:2176
	v_mad_u64_u32 v[6:7], s[6:7], s4, v197, v[6:7]
	v_add_u32_e32 v7, s2, v7
	s_waitcnt vmcnt(0)
	buffer_store_dword v20, off, s[40:43], 0 offset:148 ; 4-byte Folded Spill
	s_nop 0
	buffer_store_dword v21, off, s[40:43], 0 offset:152 ; 4-byte Folded Spill
	buffer_store_dword v22, off, s[40:43], 0 offset:156 ; 4-byte Folded Spill
	buffer_store_dword v23, off, s[40:43], 0 offset:160 ; 4-byte Folded Spill
	v_mul_f64 v[18:19], v[16:17], v[22:23]
	v_fmac_f64_e32 v[18:19], v[14:15], v[20:21]
	v_mul_f64 v[14:15], v[14:15], v[22:23]
	v_fma_f64 v[20:21], v[16:17], v[20:21], -v[14:15]
	ds_write_b128 v196, v[18:21] offset:6272
	global_load_dwordx4 v[14:17], v[6:7], off
	global_load_dwordx4 v[20:23], v[12:13], off offset:3568
	;; [unrolled: 15-line block ×6, first 2 shown]
	v_mad_u64_u32 v[6:7], s[6:7], s4, v26, v[6:7]
	v_add_u32_e32 v7, s3, v7
	s_waitcnt vmcnt(0)
	buffer_store_dword v20, off, s[40:43], 0 offset:340 ; 4-byte Folded Spill
	s_nop 0
	buffer_store_dword v21, off, s[40:43], 0 offset:344 ; 4-byte Folded Spill
	buffer_store_dword v22, off, s[40:43], 0 offset:348 ; 4-byte Folded Spill
	;; [unrolled: 1-line block ×3, first 2 shown]
	v_mul_f64 v[18:19], v[16:17], v[22:23]
	v_fmac_f64_e32 v[18:19], v[14:15], v[20:21]
	v_mul_f64 v[14:15], v[14:15], v[22:23]
	v_fma_f64 v[20:21], v[16:17], v[20:21], -v[14:15]
	ds_write_b128 v196, v[18:21] offset:33712
	global_load_dwordx4 v[14:17], v[6:7], off
	global_load_dwordx4 v[20:23], v196, s[8:9] offset:1568
	v_mad_u64_u32 v[6:7], s[6:7], s4, v197, v[6:7]
	v_add_u32_e32 v7, s2, v7
	s_waitcnt vmcnt(0)
	buffer_store_dword v20, off, s[40:43], 0 offset:404 ; 4-byte Folded Spill
	s_nop 0
	buffer_store_dword v21, off, s[40:43], 0 offset:408 ; 4-byte Folded Spill
	buffer_store_dword v22, off, s[40:43], 0 offset:412 ; 4-byte Folded Spill
	;; [unrolled: 1-line block ×3, first 2 shown]
	v_mul_f64 v[18:19], v[16:17], v[22:23]
	v_fmac_f64_e32 v[18:19], v[14:15], v[20:21]
	v_mul_f64 v[14:15], v[14:15], v[22:23]
	v_fma_f64 v[20:21], v[16:17], v[20:21], -v[14:15]
	ds_write_b128 v196, v[18:21] offset:1568
	global_load_dwordx4 v[14:17], v[6:7], off
	global_load_dwordx4 v[20:23], v[8:9], off offset:2960
	v_mad_u64_u32 v[6:7], s[6:7], s4, v197, v[6:7]
	v_add_u32_e32 v7, s2, v7
	s_waitcnt vmcnt(0)
	buffer_store_dword v20, off, s[40:43], 0 offset:356 ; 4-byte Folded Spill
	s_nop 0
	buffer_store_dword v21, off, s[40:43], 0 offset:360 ; 4-byte Folded Spill
	buffer_store_dword v22, off, s[40:43], 0 offset:364 ; 4-byte Folded Spill
	;; [unrolled: 1-line block ×3, first 2 shown]
	v_mul_f64 v[18:19], v[16:17], v[22:23]
	v_fmac_f64_e32 v[18:19], v[14:15], v[20:21]
	v_mul_f64 v[14:15], v[14:15], v[22:23]
	v_fma_f64 v[20:21], v[16:17], v[20:21], -v[14:15]
	v_add_co_u32_e32 v14, vcc, s34, v32
	v_addc_co_u32_e32 v15, vcc, 0, v27, vcc
	global_load_dwordx4 v[22:25], v[14:15], off offset:256
	ds_write_b128 v196, v[18:21] offset:7056
	global_load_dwordx4 v[16:19], v[6:7], off
	v_mad_u64_u32 v[6:7], s[6:7], s4, v197, v[6:7]
	v_add_u32_e32 v7, s2, v7
	s_waitcnt vmcnt(1)
	buffer_store_dword v22, off, s[40:43], 0 offset:372 ; 4-byte Folded Spill
	s_nop 0
	buffer_store_dword v23, off, s[40:43], 0 offset:376 ; 4-byte Folded Spill
	buffer_store_dword v24, off, s[40:43], 0 offset:380 ; 4-byte Folded Spill
	;; [unrolled: 1-line block ×3, first 2 shown]
	s_waitcnt vmcnt(4)
	v_mul_f64 v[20:21], v[18:19], v[24:25]
	v_fmac_f64_e32 v[20:21], v[16:17], v[22:23]
	v_mul_f64 v[16:17], v[16:17], v[24:25]
	v_fma_f64 v[22:23], v[18:19], v[22:23], -v[16:17]
	ds_write_b128 v196, v[20:23] offset:12544
	global_load_dwordx4 v[16:19], v[6:7], off
	global_load_dwordx4 v[22:25], v[0:1], off offset:1648
	v_mad_u64_u32 v[6:7], s[6:7], s4, v197, v[6:7]
	v_add_u32_e32 v7, s2, v7
	s_waitcnt vmcnt(0)
	buffer_store_dword v22, off, s[40:43], 0 offset:324 ; 4-byte Folded Spill
	s_nop 0
	buffer_store_dword v23, off, s[40:43], 0 offset:328 ; 4-byte Folded Spill
	buffer_store_dword v24, off, s[40:43], 0 offset:332 ; 4-byte Folded Spill
	;; [unrolled: 1-line block ×3, first 2 shown]
	v_mul_f64 v[20:21], v[18:19], v[24:25]
	v_fmac_f64_e32 v[20:21], v[16:17], v[22:23]
	v_mul_f64 v[16:17], v[16:17], v[24:25]
	v_fma_f64 v[22:23], v[18:19], v[22:23], -v[16:17]
	ds_write_b128 v196, v[20:23] offset:18032
	global_load_dwordx4 v[16:19], v[6:7], off
	global_load_dwordx4 v[22:25], v[10:11], off offset:3040
	s_waitcnt vmcnt(0)
	buffer_store_dword v22, off, s[40:43], 0 offset:276 ; 4-byte Folded Spill
	s_nop 0
	buffer_store_dword v23, off, s[40:43], 0 offset:280 ; 4-byte Folded Spill
	buffer_store_dword v24, off, s[40:43], 0 offset:284 ; 4-byte Folded Spill
	;; [unrolled: 1-line block ×3, first 2 shown]
	v_mul_f64 v[20:21], v[18:19], v[24:25]
	v_fmac_f64_e32 v[20:21], v[16:17], v[22:23]
	v_mul_f64 v[16:17], v[16:17], v[24:25]
	v_mad_u64_u32 v[24:25], s[6:7], s4, v197, v[6:7]
	v_add_co_u32_e32 v6, vcc, s30, v32
	v_addc_co_u32_e32 v7, vcc, 0, v27, vcc
	global_load_dwordx4 v[28:31], v[6:7], off offset:336
	v_add_u32_e32 v25, s2, v25
	v_fma_f64 v[22:23], v[18:19], v[22:23], -v[16:17]
	global_load_dwordx4 v[16:19], v[24:25], off
	ds_write_b128 v196, v[20:23] offset:23520
	v_mad_u64_u32 v[24:25], s[6:7], s4, v197, v[24:25]
	v_add_u32_e32 v25, s2, v25
	v_add_co_u32_e32 v219, vcc, s5, v216
	s_movk_i32 s5, 0xc4
	v_add_co_u32_e32 v221, vcc, s5, v216
	s_waitcnt vmcnt(1)
	buffer_store_dword v28, off, s[40:43], 0 offset:292 ; 4-byte Folded Spill
	s_nop 0
	buffer_store_dword v29, off, s[40:43], 0 offset:296 ; 4-byte Folded Spill
	buffer_store_dword v30, off, s[40:43], 0 offset:300 ; 4-byte Folded Spill
	;; [unrolled: 1-line block ×3, first 2 shown]
	s_movk_i32 s5, 0xf5
	v_add_co_u32_e32 v220, vcc, s5, v216
	s_movk_i32 s5, 0x126
	v_add_co_u32_e32 v222, vcc, s5, v216
	s_waitcnt vmcnt(4)
	v_mul_f64 v[20:21], v[18:19], v[30:31]
	v_fmac_f64_e32 v[20:21], v[16:17], v[28:29]
	v_mul_f64 v[16:17], v[16:17], v[30:31]
	v_fma_f64 v[22:23], v[18:19], v[28:29], -v[16:17]
	ds_write_b128 v196, v[20:23] offset:29008
	global_load_dwordx4 v[16:19], v[24:25], off
	global_load_dwordx4 v[28:31], v[2:3], off offset:1728
	v_mad_u64_u32 v[24:25], s[6:7], s4, v26, v[24:25]
	v_add_u32_e32 v25, s3, v25
	s_waitcnt vmcnt(0)
	buffer_store_dword v28, off, s[40:43], 0 offset:244 ; 4-byte Folded Spill
	s_nop 0
	buffer_store_dword v29, off, s[40:43], 0 offset:248 ; 4-byte Folded Spill
	buffer_store_dword v30, off, s[40:43], 0 offset:252 ; 4-byte Folded Spill
	;; [unrolled: 1-line block ×3, first 2 shown]
	v_mul_f64 v[20:21], v[18:19], v[30:31]
	v_fmac_f64_e32 v[20:21], v[16:17], v[28:29]
	v_mul_f64 v[16:17], v[16:17], v[30:31]
	v_fma_f64 v[22:23], v[18:19], v[28:29], -v[16:17]
	ds_write_b128 v196, v[20:23] offset:34496
	global_load_dwordx4 v[16:19], v[24:25], off
	global_load_dwordx4 v[28:31], v196, s[8:9] offset:2352
	v_mad_u64_u32 v[24:25], s[6:7], s4, v197, v[24:25]
	v_add_u32_e32 v25, s2, v25
	s_waitcnt vmcnt(0)
	buffer_store_dword v28, off, s[40:43], 0 offset:308 ; 4-byte Folded Spill
	s_nop 0
	buffer_store_dword v29, off, s[40:43], 0 offset:312 ; 4-byte Folded Spill
	buffer_store_dword v30, off, s[40:43], 0 offset:316 ; 4-byte Folded Spill
	buffer_store_dword v31, off, s[40:43], 0 offset:320 ; 4-byte Folded Spill
	v_mul_f64 v[20:21], v[18:19], v[30:31]
	v_fmac_f64_e32 v[20:21], v[16:17], v[28:29]
	v_mul_f64 v[16:17], v[16:17], v[30:31]
	v_fma_f64 v[22:23], v[18:19], v[28:29], -v[16:17]
	ds_write_b128 v196, v[20:23] offset:2352
	global_load_dwordx4 v[16:19], v[24:25], off
	global_load_dwordx4 v[28:31], v[8:9], off offset:3744
	v_mad_u64_u32 v[24:25], s[6:7], s4, v197, v[24:25]
	v_add_u32_e32 v25, s2, v25
	s_waitcnt vmcnt(0)
	buffer_store_dword v28, off, s[40:43], 0 offset:260 ; 4-byte Folded Spill
	s_nop 0
	buffer_store_dword v29, off, s[40:43], 0 offset:264 ; 4-byte Folded Spill
	buffer_store_dword v30, off, s[40:43], 0 offset:268 ; 4-byte Folded Spill
	buffer_store_dword v31, off, s[40:43], 0 offset:272 ; 4-byte Folded Spill
	v_mul_f64 v[20:21], v[18:19], v[30:31]
	v_fmac_f64_e32 v[20:21], v[16:17], v[28:29]
	v_mul_f64 v[16:17], v[16:17], v[30:31]
	v_fma_f64 v[22:23], v[18:19], v[28:29], -v[16:17]
	ds_write_b128 v196, v[20:23] offset:7840
	global_load_dwordx4 v[16:19], v[24:25], off
	global_load_dwordx4 v[28:31], v[14:15], off offset:1040
	;; [unrolled: 15-line block ×6, first 2 shown]
	v_mad_u64_u32 v[24:25], s[6:7], s4, v26, v[24:25]
	v_add_u32_e32 v25, s3, v25
	s_waitcnt vmcnt(0)
	buffer_store_dword v28, off, s[40:43], 0 offset:644 ; 4-byte Folded Spill
	s_nop 0
	buffer_store_dword v29, off, s[40:43], 0 offset:648 ; 4-byte Folded Spill
	buffer_store_dword v30, off, s[40:43], 0 offset:652 ; 4-byte Folded Spill
	;; [unrolled: 1-line block ×3, first 2 shown]
	v_mul_f64 v[20:21], v[18:19], v[30:31]
	v_fmac_f64_e32 v[20:21], v[16:17], v[28:29]
	v_mul_f64 v[16:17], v[16:17], v[30:31]
	v_fma_f64 v[22:23], v[18:19], v[28:29], -v[16:17]
	ds_write_b128 v196, v[20:23] offset:35280
	global_load_dwordx4 v[16:19], v[24:25], off
	global_load_dwordx4 v[28:31], v196, s[8:9] offset:3136
	v_mad_u64_u32 v[24:25], s[6:7], s4, v197, v[24:25]
	s_waitcnt vmcnt(0)
	buffer_store_dword v28, off, s[40:43], 0 offset:628 ; 4-byte Folded Spill
	s_nop 0
	buffer_store_dword v29, off, s[40:43], 0 offset:632 ; 4-byte Folded Spill
	buffer_store_dword v30, off, s[40:43], 0 offset:636 ; 4-byte Folded Spill
	;; [unrolled: 1-line block ×3, first 2 shown]
	v_add_u32_e32 v25, s2, v25
	v_mul_f64 v[20:21], v[18:19], v[30:31]
	v_fmac_f64_e32 v[20:21], v[16:17], v[28:29]
	v_mul_f64 v[16:17], v[16:17], v[30:31]
	v_fma_f64 v[22:23], v[18:19], v[28:29], -v[16:17]
	ds_write_b128 v196, v[20:23] offset:3136
	global_load_dwordx4 v[16:19], v[24:25], off
	global_load_dwordx4 v[28:31], v[12:13], off offset:432
	v_mad_u64_u32 v[24:25], s[6:7], s4, v197, v[24:25]
	s_waitcnt vmcnt(0)
	buffer_store_dword v28, off, s[40:43], 0 offset:612 ; 4-byte Folded Spill
	s_nop 0
	buffer_store_dword v29, off, s[40:43], 0 offset:616 ; 4-byte Folded Spill
	buffer_store_dword v30, off, s[40:43], 0 offset:620 ; 4-byte Folded Spill
	;; [unrolled: 1-line block ×3, first 2 shown]
	v_add_u32_e32 v25, s2, v25
	v_mul_f64 v[20:21], v[18:19], v[30:31]
	v_fmac_f64_e32 v[20:21], v[16:17], v[28:29]
	v_mul_f64 v[16:17], v[16:17], v[30:31]
	v_fma_f64 v[22:23], v[18:19], v[28:29], -v[16:17]
	ds_write_b128 v196, v[20:23] offset:8624
	global_load_dwordx4 v[16:19], v[24:25], off
	global_load_dwordx4 v[28:31], v[14:15], off offset:1824
	s_waitcnt vmcnt(0)
	buffer_store_dword v28, off, s[40:43], 0 offset:596 ; 4-byte Folded Spill
	s_nop 0
	buffer_store_dword v29, off, s[40:43], 0 offset:600 ; 4-byte Folded Spill
	buffer_store_dword v30, off, s[40:43], 0 offset:604 ; 4-byte Folded Spill
	buffer_store_dword v31, off, s[40:43], 0 offset:608 ; 4-byte Folded Spill
	v_mad_u64_u32 v[24:25], s[6:7], s4, v197, v[24:25]
	v_add_u32_e32 v25, s2, v25
	v_mul_f64 v[20:21], v[18:19], v[30:31]
	v_fmac_f64_e32 v[20:21], v[16:17], v[28:29]
	v_mul_f64 v[16:17], v[16:17], v[30:31]
	v_fma_f64 v[22:23], v[18:19], v[28:29], -v[16:17]
	ds_write_b128 v196, v[20:23] offset:14112
	global_load_dwordx4 v[16:19], v[24:25], off
	global_load_dwordx4 v[28:31], v[0:1], off offset:3216
	s_waitcnt vmcnt(0)
	buffer_store_dword v28, off, s[40:43], 0 offset:580 ; 4-byte Folded Spill
	s_nop 0
	buffer_store_dword v29, off, s[40:43], 0 offset:584 ; 4-byte Folded Spill
	buffer_store_dword v30, off, s[40:43], 0 offset:588 ; 4-byte Folded Spill
	buffer_store_dword v31, off, s[40:43], 0 offset:592 ; 4-byte Folded Spill
	v_mad_u64_u32 v[24:25], s[6:7], s4, v197, v[24:25]
	;; [unrolled: 15-line block ×5, first 2 shown]
	v_add_u32_e32 v25, s3, v25
	v_mul_f64 v[20:21], v[18:19], v[30:31]
	v_fmac_f64_e32 v[20:21], v[16:17], v[28:29]
	v_mul_f64 v[16:17], v[16:17], v[30:31]
	v_fma_f64 v[22:23], v[18:19], v[28:29], -v[16:17]
	ds_write_b128 v196, v[20:23] offset:36064
	global_load_dwordx4 v[16:19], v[24:25], off
	global_load_dwordx4 v[28:31], v196, s[8:9] offset:3920
	s_waitcnt vmcnt(0)
	buffer_store_dword v28, off, s[40:43], 0 offset:548 ; 4-byte Folded Spill
	s_nop 0
	buffer_store_dword v29, off, s[40:43], 0 offset:552 ; 4-byte Folded Spill
	buffer_store_dword v30, off, s[40:43], 0 offset:556 ; 4-byte Folded Spill
	;; [unrolled: 1-line block ×3, first 2 shown]
	v_mad_u64_u32 v[24:25], s[6:7], s4, v197, v[24:25]
	v_add_u32_e32 v25, s2, v25
	s_mov_b32 s8, 0x5476071b
	s_mov_b32 s9, 0x3fe77f67
	;; [unrolled: 1-line block ×3, first 2 shown]
	v_mul_f64 v[20:21], v[18:19], v[30:31]
	v_fmac_f64_e32 v[20:21], v[16:17], v[28:29]
	v_mul_f64 v[16:17], v[16:17], v[30:31]
	v_fma_f64 v[22:23], v[18:19], v[28:29], -v[16:17]
	ds_write_b128 v196, v[20:23] offset:3920
	global_load_dwordx4 v[16:19], v[24:25], off
	global_load_dwordx4 v[28:31], v[12:13], off offset:1216
	s_waitcnt vmcnt(0)
	buffer_store_dword v28, off, s[40:43], 0 offset:516 ; 4-byte Folded Spill
	s_nop 0
	buffer_store_dword v29, off, s[40:43], 0 offset:520 ; 4-byte Folded Spill
	buffer_store_dword v30, off, s[40:43], 0 offset:524 ; 4-byte Folded Spill
	;; [unrolled: 1-line block ×3, first 2 shown]
	v_mad_u64_u32 v[24:25], s[6:7], s4, v197, v[24:25]
	v_add_u32_e32 v25, s2, v25
	v_mul_f64 v[20:21], v[18:19], v[30:31]
	v_fmac_f64_e32 v[20:21], v[16:17], v[28:29]
	v_mul_f64 v[16:17], v[16:17], v[30:31]
	v_fma_f64 v[22:23], v[18:19], v[28:29], -v[16:17]
	ds_write_b128 v196, v[20:23] offset:9408
	global_load_dwordx4 v[16:19], v[24:25], off
	global_load_dwordx4 v[28:31], v[14:15], off offset:2608
	s_waitcnt vmcnt(0)
	buffer_store_dword v28, off, s[40:43], 0 offset:484 ; 4-byte Folded Spill
	s_nop 0
	buffer_store_dword v29, off, s[40:43], 0 offset:488 ; 4-byte Folded Spill
	buffer_store_dword v30, off, s[40:43], 0 offset:492 ; 4-byte Folded Spill
	;; [unrolled: 1-line block ×3, first 2 shown]
	v_mad_u64_u32 v[24:25], s[6:7], s4, v197, v[24:25]
	v_add_u32_e32 v25, s2, v25
	v_mul_f64 v[20:21], v[18:19], v[30:31]
	v_fmac_f64_e32 v[20:21], v[16:17], v[28:29]
	v_mul_f64 v[16:17], v[16:17], v[30:31]
	v_fma_f64 v[22:23], v[18:19], v[28:29], -v[16:17]
	ds_write_b128 v196, v[20:23] offset:14896
	global_load_dwordx4 v[16:19], v[24:25], off
	global_load_dwordx4 v[28:31], v[0:1], off offset:4000
	s_waitcnt vmcnt(0)
	buffer_store_dword v28, off, s[40:43], 0 offset:468 ; 4-byte Folded Spill
	s_nop 0
	buffer_store_dword v29, off, s[40:43], 0 offset:472 ; 4-byte Folded Spill
	buffer_store_dword v30, off, s[40:43], 0 offset:476 ; 4-byte Folded Spill
	;; [unrolled: 1-line block ×3, first 2 shown]
	v_mul_f64 v[20:21], v[18:19], v[30:31]
	v_mul_f64 v[0:1], v[16:17], v[30:31]
	v_fmac_f64_e32 v[20:21], v[16:17], v[28:29]
	v_fma_f64 v[22:23], v[18:19], v[28:29], -v[0:1]
	v_mad_u64_u32 v[0:1], s[6:7], s4, v197, v[24:25]
	ds_write_b128 v196, v[20:23] offset:20384
	v_add_u32_e32 v1, s2, v1
	global_load_dwordx4 v[16:19], v[0:1], off
	global_load_dwordx4 v[22:25], v[4:5], off offset:1296
	s_waitcnt vmcnt(0)
	buffer_store_dword v22, off, s[40:43], 0 offset:436 ; 4-byte Folded Spill
	s_nop 0
	buffer_store_dword v23, off, s[40:43], 0 offset:440 ; 4-byte Folded Spill
	buffer_store_dword v24, off, s[40:43], 0 offset:444 ; 4-byte Folded Spill
	;; [unrolled: 1-line block ×3, first 2 shown]
	v_mad_u64_u32 v[0:1], s[6:7], s4, v197, v[0:1]
	v_add_u32_e32 v1, s2, v1
	v_mul_f64 v[20:21], v[18:19], v[24:25]
	v_fmac_f64_e32 v[20:21], v[16:17], v[22:23]
	v_mul_f64 v[16:17], v[16:17], v[24:25]
	v_fma_f64 v[22:23], v[18:19], v[22:23], -v[16:17]
	ds_write_b128 v196, v[20:23] offset:25872
	global_load_dwordx4 v[16:19], v[0:1], off
	global_load_dwordx4 v[28:31], v[6:7], off offset:2688
	s_waitcnt vmcnt(0)
	buffer_store_dword v28, off, s[40:43], 0 offset:676 ; 4-byte Folded Spill
	s_nop 0
	buffer_store_dword v29, off, s[40:43], 0 offset:680 ; 4-byte Folded Spill
	buffer_store_dword v30, off, s[40:43], 0 offset:684 ; 4-byte Folded Spill
	;; [unrolled: 1-line block ×3, first 2 shown]
	v_mul_f64 v[20:21], v[18:19], v[30:31]
	v_fmac_f64_e32 v[20:21], v[16:17], v[28:29]
	v_mul_f64 v[16:17], v[16:17], v[30:31]
	v_fma_f64 v[22:23], v[18:19], v[28:29], -v[16:17]
	ds_write_b128 v196, v[20:23] offset:31360
	v_mad_u64_u32 v[20:21], s[6:7], s4, v197, v[0:1]
	v_add_u32_e32 v21, s2, v21
	global_load_dwordx4 v[16:19], v[20:21], off
	global_load_dwordx4 v[22:25], v[2:3], off offset:4080
	s_waitcnt vmcnt(0)
	buffer_store_dword v22, off, s[40:43], 0 offset:660 ; 4-byte Folded Spill
	s_nop 0
	buffer_store_dword v23, off, s[40:43], 0 offset:664 ; 4-byte Folded Spill
	buffer_store_dword v24, off, s[40:43], 0 offset:668 ; 4-byte Folded Spill
	;; [unrolled: 1-line block ×3, first 2 shown]
	v_mul_f64 v[0:1], v[18:19], v[24:25]
	v_mul_f64 v[2:3], v[16:17], v[24:25]
	v_fmac_f64_e32 v[0:1], v[16:17], v[22:23]
	v_fma_f64 v[2:3], v[18:19], v[22:23], -v[2:3]
	v_mad_u64_u32 v[16:17], s[6:7], s4, v26, v[20:21]
	ds_write_b128 v196, v[0:3] offset:36848
	v_add_u32_e32 v17, s3, v17
	global_load_dwordx4 v[0:3], v[16:17], off
	global_load_dwordx4 v[20:23], v[8:9], off offset:608
	s_waitcnt vmcnt(0)
	buffer_store_dword v20, off, s[40:43], 0 offset:724 ; 4-byte Folded Spill
	s_nop 0
	buffer_store_dword v21, off, s[40:43], 0 offset:728 ; 4-byte Folded Spill
	buffer_store_dword v22, off, s[40:43], 0 offset:732 ; 4-byte Folded Spill
	;; [unrolled: 1-line block ×3, first 2 shown]
	v_mad_u64_u32 v[8:9], s[6:7], s4, v197, v[16:17]
	v_add_u32_e32 v9, s2, v9
	s_mov_b32 s3, 0x3fdc38aa
	v_mul_f64 v[18:19], v[2:3], v[22:23]
	v_fmac_f64_e32 v[18:19], v[0:1], v[20:21]
	v_mul_f64 v[0:1], v[0:1], v[22:23]
	v_fma_f64 v[20:21], v[2:3], v[20:21], -v[0:1]
	ds_write_b128 v196, v[18:21] offset:4704
	global_load_dwordx4 v[0:3], v[8:9], off
	global_load_dwordx4 v[18:21], v[12:13], off offset:2000
	s_waitcnt vmcnt(0)
	buffer_store_dword v18, off, s[40:43], 0 offset:708 ; 4-byte Folded Spill
	s_nop 0
	buffer_store_dword v19, off, s[40:43], 0 offset:712 ; 4-byte Folded Spill
	buffer_store_dword v20, off, s[40:43], 0 offset:716 ; 4-byte Folded Spill
	;; [unrolled: 1-line block ×3, first 2 shown]
	v_mad_u64_u32 v[8:9], s[6:7], s4, v197, v[8:9]
	v_add_u32_e32 v9, s2, v9
	v_mul_f64 v[16:17], v[2:3], v[20:21]
	v_fmac_f64_e32 v[16:17], v[0:1], v[18:19]
	v_mul_f64 v[0:1], v[0:1], v[20:21]
	v_fma_f64 v[18:19], v[2:3], v[18:19], -v[0:1]
	ds_write_b128 v196, v[16:19] offset:10192
	global_load_dwordx4 v[0:3], v[8:9], off
	s_nop 0
	global_load_dwordx4 v[14:17], v[14:15], off offset:3392
	s_waitcnt vmcnt(0)
	buffer_store_dword v14, off, s[40:43], 0 offset:692 ; 4-byte Folded Spill
	s_nop 0
	buffer_store_dword v15, off, s[40:43], 0 offset:696 ; 4-byte Folded Spill
	buffer_store_dword v16, off, s[40:43], 0 offset:700 ; 4-byte Folded Spill
	;; [unrolled: 1-line block ×3, first 2 shown]
	v_mul_f64 v[12:13], v[2:3], v[16:17]
	v_fmac_f64_e32 v[12:13], v[0:1], v[14:15]
	v_mul_f64 v[0:1], v[0:1], v[16:17]
	v_fma_f64 v[14:15], v[2:3], v[14:15], -v[0:1]
	v_mad_u64_u32 v[0:1], s[6:7], s4, v197, v[8:9]
	ds_write_b128 v196, v[12:15] offset:15680
	v_add_u32_e32 v1, s2, v1
	global_load_dwordx4 v[12:15], v[0:1], off
	global_load_dwordx4 v[16:19], v[10:11], off offset:688
	s_waitcnt vmcnt(0)
	buffer_store_dword v16, off, s[40:43], 0 offset:740 ; 4-byte Folded Spill
	s_nop 0
	buffer_store_dword v17, off, s[40:43], 0 offset:744 ; 4-byte Folded Spill
	buffer_store_dword v18, off, s[40:43], 0 offset:748 ; 4-byte Folded Spill
	;; [unrolled: 1-line block ×3, first 2 shown]
	v_mul_f64 v[8:9], v[14:15], v[18:19]
	v_mul_f64 v[2:3], v[12:13], v[18:19]
	v_fmac_f64_e32 v[8:9], v[12:13], v[16:17]
	v_fma_f64 v[10:11], v[14:15], v[16:17], -v[2:3]
	v_mad_u64_u32 v[12:13], s[6:7], s4, v197, v[0:1]
	ds_write_b128 v196, v[8:11] offset:21168
	v_add_u32_e32 v13, s2, v13
	global_load_dwordx4 v[0:3], v[12:13], off
	global_load_dwordx4 v[14:17], v[4:5], off offset:2080
	s_waitcnt vmcnt(0)
	buffer_store_dword v14, off, s[40:43], 0 offset:756 ; 4-byte Folded Spill
	s_nop 0
	buffer_store_dword v15, off, s[40:43], 0 offset:760 ; 4-byte Folded Spill
	buffer_store_dword v16, off, s[40:43], 0 offset:764 ; 4-byte Folded Spill
	buffer_store_dword v17, off, s[40:43], 0 offset:768 ; 4-byte Folded Spill
	v_mul_f64 v[8:9], v[2:3], v[16:17]
	v_fmac_f64_e32 v[8:9], v[0:1], v[14:15]
	v_mul_f64 v[0:1], v[0:1], v[16:17]
	v_fma_f64 v[10:11], v[2:3], v[14:15], -v[0:1]
	ds_write_b128 v196, v[8:11] offset:26656
	v_mad_u64_u32 v[8:9], s[6:7], s4, v197, v[12:13]
	v_add_u32_e32 v9, s2, v9
	global_load_dwordx4 v[0:3], v[8:9], off
	global_load_dwordx4 v[10:13], v[6:7], off offset:3472
	s_waitcnt vmcnt(0)
	buffer_store_dword v10, off, s[40:43], 0 offset:796 ; 4-byte Folded Spill
	s_nop 0
	buffer_store_dword v11, off, s[40:43], 0 offset:800 ; 4-byte Folded Spill
	buffer_store_dword v12, off, s[40:43], 0 offset:804 ; 4-byte Folded Spill
	;; [unrolled: 1-line block ×3, first 2 shown]
	s_mov_b32 s6, 0x429ad128
	s_mov_b32 s7, 0xbfebfeb5
	;; [unrolled: 1-line block ×3, first 2 shown]
	v_mul_f64 v[4:5], v[2:3], v[12:13]
	v_fmac_f64_e32 v[4:5], v[0:1], v[10:11]
	v_mul_f64 v[0:1], v[0:1], v[12:13]
	v_fma_f64 v[6:7], v[2:3], v[10:11], -v[0:1]
	v_mad_u64_u32 v[0:1], s[4:5], s4, v197, v[8:9]
	v_add_u32_e32 v1, s2, v1
	s_mov_b32 s2, 0x9000
	v_add_co_u32_e32 v8, vcc, s2, v32
	v_addc_co_u32_e32 v9, vcc, 0, v27, vcc
	ds_write_b128 v196, v[4:7] offset:32144
	global_load_dwordx4 v[4:7], v[8:9], off offset:768
	v_accvgpr_write_b32 a199, v9
	global_load_dwordx4 v[0:3], v[0:1], off
	v_accvgpr_write_b32 a198, v8
	s_mov_b32 s4, 0x36b3c0b5
	s_mov_b32 s5, 0x3fac98ee
	;; [unrolled: 1-line block ×3, first 2 shown]
	s_waitcnt vmcnt(1)
	v_pk_mov_b32 v[8:9], v[6:7], v[6:7] op_sel:[0,1]
	v_pk_mov_b32 v[6:7], v[4:5], v[4:5] op_sel:[0,1]
	s_waitcnt vmcnt(0)
	v_mul_f64 v[4:5], v[2:3], v[8:9]
	v_fmac_f64_e32 v[4:5], v[0:1], v[6:7]
	v_mul_f64 v[0:1], v[0:1], v[8:9]
	buffer_store_dword v6, off, s[40:43], 0 offset:452 ; 4-byte Folded Spill
	s_nop 0
	buffer_store_dword v7, off, s[40:43], 0 offset:456 ; 4-byte Folded Spill
	buffer_store_dword v8, off, s[40:43], 0 offset:460 ; 4-byte Folded Spill
	;; [unrolled: 1-line block ×3, first 2 shown]
	v_fma_f64 v[6:7], v[2:3], v[6:7], -v[0:1]
	ds_write_b128 v196, v[4:7] offset:37632
	s_waitcnt lgkmcnt(0)
	; wave barrier
	s_waitcnt lgkmcnt(0)
	ds_read_b128 v[4:7], v196
	ds_read_b128 v[24:27], v196 offset:5488
	ds_read_b128 v[16:19], v196 offset:10976
	;; [unrolled: 1-line block ×48, first 2 shown]
	s_waitcnt lgkmcnt(14)
	v_add_f64 v[198:199], v[24:25], v[28:29]
	v_add_f64 v[24:25], v[24:25], -v[28:29]
	v_add_f64 v[28:29], v[16:17], v[20:21]
	v_add_f64 v[200:201], v[26:27], v[30:31]
	v_add_f64 v[26:27], v[26:27], -v[30:31]
	v_add_f64 v[30:31], v[18:19], v[22:23]
	v_add_f64 v[16:17], v[16:17], -v[20:21]
	;; [unrolled: 2-line block ×5, first 2 shown]
	v_add_f64 v[14:15], v[30:31], v[200:201]
	v_add_f64 v[12:13], v[20:21], v[12:13]
	;; [unrolled: 1-line block ×4, first 2 shown]
	v_add_f64 v[202:203], v[28:29], -v[198:199]
	v_add_f64 v[204:205], v[30:31], -v[200:201]
	;; [unrolled: 1-line block ×6, first 2 shown]
	v_add_f64 v[206:207], v[8:9], v[16:17]
	v_add_f64 v[208:209], v[10:11], v[18:19]
	v_add_f64 v[212:213], v[10:11], -v[18:19]
	v_add_f64 v[18:19], v[18:19], -v[26:27]
	v_add_f64 v[6:7], v[6:7], v[14:15]
	v_pk_mov_b32 v[214:215], v[4:5], v[4:5] op_sel:[0,1]
	v_add_f64 v[210:211], v[8:9], -v[16:17]
	v_add_f64 v[8:9], v[24:25], -v[8:9]
	;; [unrolled: 1-line block ×4, first 2 shown]
	v_add_f64 v[20:21], v[206:207], v[24:25]
	v_add_f64 v[22:23], v[208:209], v[26:27]
	v_mul_f64 v[24:25], v[198:199], s[22:23]
	v_mul_f64 v[26:27], v[200:201], s[22:23]
	;; [unrolled: 1-line block ×6, first 2 shown]
	v_fmac_f64_e32 v[214:215], s[20:21], v[12:13]
	v_pk_mov_b32 v[12:13], v[6:7], v[6:7] op_sel:[0,1]
	v_mul_f64 v[206:207], v[210:211], s[24:25]
	v_mul_f64 v[210:211], v[16:17], s[6:7]
	v_fmac_f64_e32 v[12:13], s[20:21], v[14:15]
	v_fma_f64 v[14:15], v[202:203], s[8:9], -v[198:199]
	v_fma_f64 v[198:199], v[204:205], s[8:9], -v[200:201]
	;; [unrolled: 1-line block ×3, first 2 shown]
	v_fmac_f64_e32 v[212:213], s[18:19], v[10:11]
	v_fmac_f64_e32 v[24:25], s[4:5], v[28:29]
	v_fma_f64 v[28:29], v[204:205], s[16:17], -v[26:27]
	v_fmac_f64_e32 v[26:27], s[4:5], v[30:31]
	v_fma_f64 v[202:203], v[16:17], s[26:27], -v[206:207]
	v_fma_f64 v[16:17], v[18:19], s[26:27], -v[208:209]
	v_fmac_f64_e32 v[210:211], s[18:19], v[8:9]
	v_add_f64 v[18:19], v[198:199], v[12:13]
	v_add_f64 v[198:199], v[200:201], v[214:215]
	v_fmac_f64_e32 v[212:213], s[2:3], v[22:23]
	v_fmac_f64_e32 v[206:207], s[14:15], v[8:9]
	;; [unrolled: 1-line block ×3, first 2 shown]
	v_add_f64 v[8:9], v[24:25], v[214:215]
	v_add_f64 v[10:11], v[26:27], v[12:13]
	;; [unrolled: 1-line block ×4, first 2 shown]
	v_fmac_f64_e32 v[16:17], s[2:3], v[22:23]
	v_fmac_f64_e32 v[210:211], s[2:3], v[20:21]
	v_add_f64 v[24:25], v[198:199], v[212:213]
	v_add_f64 v[12:13], v[198:199], -v[212:213]
	v_add_f64 v[198:199], v[52:53], v[56:57]
	v_add_f64 v[52:53], v[52:53], -v[56:57]
	v_add_f64 v[56:57], v[44:45], v[48:49]
	v_fmac_f64_e32 v[206:207], s[2:3], v[20:21]
	v_fmac_f64_e32 v[202:203], s[2:3], v[20:21]
	v_add_f64 v[26:27], v[200:201], -v[210:211]
	v_add_f64 v[20:21], v[14:15], -v[16:17]
	v_add_f64 v[16:17], v[14:15], v[16:17]
	v_add_f64 v[14:15], v[210:211], v[200:201]
	;; [unrolled: 1-line block ×3, first 2 shown]
	v_add_f64 v[54:55], v[54:55], -v[58:59]
	v_add_f64 v[58:59], v[46:47], v[50:51]
	v_add_f64 v[44:45], v[44:45], -v[48:49]
	v_add_f64 v[48:49], v[36:37], v[40:41]
	v_add_f64 v[36:37], v[40:41], -v[36:37]
	v_add_f64 v[40:41], v[56:57], v[198:199]
	v_add_f64 v[46:47], v[46:47], -v[50:51]
	v_add_f64 v[50:51], v[38:39], v[42:43]
	v_add_f64 v[38:39], v[42:43], -v[38:39]
	v_add_f64 v[42:43], v[58:59], v[200:201]
	v_add_f64 v[40:41], v[48:49], v[40:41]
	v_fmac_f64_e32 v[208:209], s[2:3], v[22:23]
	v_add_f64 v[42:43], v[50:51], v[42:43]
	v_add_f64 v[32:33], v[32:33], v[40:41]
	;; [unrolled: 1-line block ×3, first 2 shown]
	v_add_f64 v[30:31], v[10:11], -v[206:207]
	v_add_f64 v[22:23], v[202:203], v[18:19]
	v_add_f64 v[18:19], v[18:19], -v[202:203]
	v_add_f64 v[8:9], v[8:9], -v[208:209]
	v_add_f64 v[10:11], v[206:207], v[10:11]
	v_add_f64 v[202:203], v[56:57], -v[198:199]
	v_add_f64 v[204:205], v[58:59], -v[200:201]
	;; [unrolled: 1-line block ×6, first 2 shown]
	v_add_f64 v[206:207], v[36:37], v[44:45]
	v_add_f64 v[208:209], v[38:39], v[46:47]
	v_add_f64 v[212:213], v[38:39], -v[46:47]
	v_add_f64 v[46:47], v[46:47], -v[54:55]
	v_add_f64 v[34:35], v[34:35], v[42:43]
	v_pk_mov_b32 v[214:215], v[32:33], v[32:33] op_sel:[0,1]
	v_add_f64 v[210:211], v[36:37], -v[44:45]
	v_add_f64 v[36:37], v[52:53], -v[36:37]
	v_add_f64 v[38:39], v[54:55], -v[38:39]
	v_add_f64 v[44:45], v[44:45], -v[52:53]
	v_add_f64 v[48:49], v[206:207], v[52:53]
	v_add_f64 v[50:51], v[208:209], v[54:55]
	v_mul_f64 v[52:53], v[198:199], s[22:23]
	v_mul_f64 v[54:55], v[200:201], s[22:23]
	;; [unrolled: 1-line block ×6, first 2 shown]
	v_fmac_f64_e32 v[214:215], s[20:21], v[40:41]
	v_pk_mov_b32 v[40:41], v[34:35], v[34:35] op_sel:[0,1]
	v_mul_f64 v[206:207], v[210:211], s[24:25]
	v_mul_f64 v[210:211], v[44:45], s[6:7]
	v_fmac_f64_e32 v[40:41], s[20:21], v[42:43]
	v_fma_f64 v[42:43], v[202:203], s[8:9], -v[198:199]
	v_fma_f64 v[198:199], v[204:205], s[8:9], -v[200:201]
	;; [unrolled: 1-line block ×3, first 2 shown]
	v_fmac_f64_e32 v[212:213], s[18:19], v[38:39]
	v_fmac_f64_e32 v[52:53], s[4:5], v[56:57]
	v_fma_f64 v[56:57], v[204:205], s[16:17], -v[54:55]
	v_fmac_f64_e32 v[54:55], s[4:5], v[58:59]
	v_fma_f64 v[202:203], v[44:45], s[26:27], -v[206:207]
	v_fma_f64 v[44:45], v[46:47], s[26:27], -v[208:209]
	v_fmac_f64_e32 v[210:211], s[18:19], v[36:37]
	v_add_f64 v[46:47], v[198:199], v[40:41]
	v_add_f64 v[198:199], v[200:201], v[214:215]
	v_fmac_f64_e32 v[212:213], s[2:3], v[50:51]
	v_fmac_f64_e32 v[206:207], s[14:15], v[36:37]
	;; [unrolled: 1-line block ×3, first 2 shown]
	v_add_f64 v[36:37], v[52:53], v[214:215]
	v_add_f64 v[38:39], v[54:55], v[40:41]
	;; [unrolled: 1-line block ×4, first 2 shown]
	v_fmac_f64_e32 v[44:45], s[2:3], v[50:51]
	v_fmac_f64_e32 v[210:211], s[2:3], v[48:49]
	v_add_f64 v[52:53], v[198:199], v[212:213]
	v_add_f64 v[40:41], v[198:199], -v[212:213]
	v_add_f64 v[198:199], v[80:81], v[84:85]
	v_add_f64 v[80:81], v[80:81], -v[84:85]
	v_add_f64 v[84:85], v[72:73], v[76:77]
	v_fmac_f64_e32 v[206:207], s[2:3], v[48:49]
	v_fmac_f64_e32 v[202:203], s[2:3], v[48:49]
	v_add_f64 v[54:55], v[200:201], -v[210:211]
	v_add_f64 v[48:49], v[42:43], -v[44:45]
	v_add_f64 v[44:45], v[42:43], v[44:45]
	v_add_f64 v[42:43], v[210:211], v[200:201]
	;; [unrolled: 1-line block ×3, first 2 shown]
	v_add_f64 v[82:83], v[82:83], -v[86:87]
	v_add_f64 v[86:87], v[74:75], v[78:79]
	v_add_f64 v[72:73], v[72:73], -v[76:77]
	v_add_f64 v[76:77], v[64:65], v[68:69]
	;; [unrolled: 2-line block ×5, first 2 shown]
	v_add_f64 v[68:69], v[76:77], v[68:69]
	v_fmac_f64_e32 v[208:209], s[2:3], v[50:51]
	v_add_f64 v[70:71], v[78:79], v[70:71]
	v_add_f64 v[60:61], v[60:61], v[68:69]
	;; [unrolled: 1-line block ×3, first 2 shown]
	v_add_f64 v[58:59], v[38:39], -v[206:207]
	v_add_f64 v[50:51], v[202:203], v[46:47]
	v_add_f64 v[46:47], v[46:47], -v[202:203]
	v_add_f64 v[36:37], v[36:37], -v[208:209]
	v_add_f64 v[38:39], v[206:207], v[38:39]
	v_add_f64 v[202:203], v[84:85], -v[198:199]
	v_add_f64 v[204:205], v[86:87], -v[200:201]
	;; [unrolled: 1-line block ×6, first 2 shown]
	v_add_f64 v[206:207], v[64:65], v[72:73]
	v_add_f64 v[208:209], v[66:67], v[74:75]
	v_add_f64 v[212:213], v[66:67], -v[74:75]
	v_add_f64 v[74:75], v[74:75], -v[82:83]
	v_add_f64 v[62:63], v[62:63], v[70:71]
	v_pk_mov_b32 v[214:215], v[60:61], v[60:61] op_sel:[0,1]
	v_add_f64 v[210:211], v[64:65], -v[72:73]
	v_add_f64 v[64:65], v[80:81], -v[64:65]
	v_add_f64 v[66:67], v[82:83], -v[66:67]
	v_add_f64 v[72:73], v[72:73], -v[80:81]
	v_add_f64 v[76:77], v[206:207], v[80:81]
	v_add_f64 v[78:79], v[208:209], v[82:83]
	v_mul_f64 v[80:81], v[198:199], s[22:23]
	v_mul_f64 v[82:83], v[200:201], s[22:23]
	;; [unrolled: 1-line block ×6, first 2 shown]
	v_fmac_f64_e32 v[214:215], s[20:21], v[68:69]
	v_pk_mov_b32 v[68:69], v[62:63], v[62:63] op_sel:[0,1]
	v_mul_f64 v[206:207], v[210:211], s[24:25]
	v_mul_f64 v[210:211], v[72:73], s[6:7]
	v_fmac_f64_e32 v[68:69], s[20:21], v[70:71]
	v_fma_f64 v[70:71], v[202:203], s[8:9], -v[198:199]
	v_fma_f64 v[198:199], v[204:205], s[8:9], -v[200:201]
	;; [unrolled: 1-line block ×3, first 2 shown]
	v_fmac_f64_e32 v[212:213], s[18:19], v[66:67]
	v_fmac_f64_e32 v[80:81], s[4:5], v[84:85]
	v_fma_f64 v[84:85], v[204:205], s[16:17], -v[82:83]
	v_fmac_f64_e32 v[82:83], s[4:5], v[86:87]
	v_fma_f64 v[202:203], v[72:73], s[26:27], -v[206:207]
	v_fma_f64 v[72:73], v[74:75], s[26:27], -v[208:209]
	v_fmac_f64_e32 v[210:211], s[18:19], v[64:65]
	v_add_f64 v[74:75], v[198:199], v[68:69]
	v_add_f64 v[198:199], v[200:201], v[214:215]
	v_fmac_f64_e32 v[212:213], s[2:3], v[78:79]
	v_fmac_f64_e32 v[206:207], s[14:15], v[64:65]
	;; [unrolled: 1-line block ×3, first 2 shown]
	v_add_f64 v[64:65], v[80:81], v[214:215]
	v_add_f64 v[66:67], v[82:83], v[68:69]
	;; [unrolled: 1-line block ×4, first 2 shown]
	v_fmac_f64_e32 v[72:73], s[2:3], v[78:79]
	v_fmac_f64_e32 v[210:211], s[2:3], v[76:77]
	v_add_f64 v[80:81], v[198:199], v[212:213]
	v_add_f64 v[68:69], v[198:199], -v[212:213]
	v_add_f64 v[198:199], v[124:125], v[132:133]
	v_add_f64 v[124:125], v[124:125], -v[132:133]
	v_add_f64 v[132:133], v[108:109], v[116:117]
	v_fmac_f64_e32 v[206:207], s[2:3], v[76:77]
	v_fmac_f64_e32 v[202:203], s[2:3], v[76:77]
	v_add_f64 v[82:83], v[200:201], -v[210:211]
	v_add_f64 v[76:77], v[70:71], -v[72:73]
	v_add_f64 v[72:73], v[70:71], v[72:73]
	v_add_f64 v[70:71], v[210:211], v[200:201]
	;; [unrolled: 1-line block ×3, first 2 shown]
	v_add_f64 v[126:127], v[126:127], -v[134:135]
	v_add_f64 v[134:135], v[110:111], v[118:119]
	v_add_f64 v[108:109], v[108:109], -v[116:117]
	v_add_f64 v[116:117], v[92:93], v[100:101]
	;; [unrolled: 2-line block ×5, first 2 shown]
	v_add_f64 v[100:101], v[116:117], v[100:101]
	v_fmac_f64_e32 v[208:209], s[2:3], v[78:79]
	v_add_f64 v[102:103], v[118:119], v[102:103]
	v_add_f64 v[88:89], v[88:89], v[100:101]
	;; [unrolled: 1-line block ×3, first 2 shown]
	v_add_f64 v[86:87], v[66:67], -v[206:207]
	v_add_f64 v[78:79], v[202:203], v[74:75]
	v_add_f64 v[74:75], v[74:75], -v[202:203]
	v_add_f64 v[64:65], v[64:65], -v[208:209]
	v_add_f64 v[66:67], v[206:207], v[66:67]
	v_add_f64 v[202:203], v[132:133], -v[198:199]
	v_add_f64 v[204:205], v[134:135], -v[200:201]
	;; [unrolled: 1-line block ×6, first 2 shown]
	v_add_f64 v[206:207], v[92:93], v[108:109]
	v_add_f64 v[208:209], v[94:95], v[110:111]
	v_add_f64 v[212:213], v[94:95], -v[110:111]
	v_add_f64 v[110:111], v[110:111], -v[126:127]
	v_add_f64 v[90:91], v[90:91], v[102:103]
	v_pk_mov_b32 v[214:215], v[88:89], v[88:89] op_sel:[0,1]
	v_add_f64 v[210:211], v[92:93], -v[108:109]
	v_add_f64 v[92:93], v[124:125], -v[92:93]
	;; [unrolled: 1-line block ×4, first 2 shown]
	v_add_f64 v[116:117], v[206:207], v[124:125]
	v_add_f64 v[118:119], v[208:209], v[126:127]
	v_mul_f64 v[124:125], v[198:199], s[22:23]
	v_mul_f64 v[126:127], v[200:201], s[22:23]
	;; [unrolled: 1-line block ×6, first 2 shown]
	v_fmac_f64_e32 v[214:215], s[20:21], v[100:101]
	v_pk_mov_b32 v[100:101], v[90:91], v[90:91] op_sel:[0,1]
	v_mul_f64 v[206:207], v[210:211], s[24:25]
	v_mul_f64 v[210:211], v[108:109], s[6:7]
	v_fmac_f64_e32 v[100:101], s[20:21], v[102:103]
	v_fma_f64 v[102:103], v[202:203], s[8:9], -v[198:199]
	v_fma_f64 v[198:199], v[204:205], s[8:9], -v[200:201]
	;; [unrolled: 1-line block ×3, first 2 shown]
	v_fmac_f64_e32 v[212:213], s[18:19], v[94:95]
	v_fmac_f64_e32 v[124:125], s[4:5], v[132:133]
	v_fma_f64 v[132:133], v[204:205], s[16:17], -v[126:127]
	v_fmac_f64_e32 v[126:127], s[4:5], v[134:135]
	v_fma_f64 v[202:203], v[108:109], s[26:27], -v[206:207]
	v_fma_f64 v[108:109], v[110:111], s[26:27], -v[208:209]
	v_fmac_f64_e32 v[210:211], s[18:19], v[92:93]
	v_add_f64 v[110:111], v[198:199], v[100:101]
	v_add_f64 v[198:199], v[200:201], v[214:215]
	v_fmac_f64_e32 v[212:213], s[2:3], v[118:119]
	v_fmac_f64_e32 v[206:207], s[14:15], v[92:93]
	;; [unrolled: 1-line block ×3, first 2 shown]
	v_add_f64 v[92:93], v[124:125], v[214:215]
	v_add_f64 v[94:95], v[126:127], v[100:101]
	;; [unrolled: 1-line block ×4, first 2 shown]
	v_fmac_f64_e32 v[108:109], s[2:3], v[118:119]
	v_fmac_f64_e32 v[210:211], s[2:3], v[116:117]
	v_add_f64 v[124:125], v[198:199], v[212:213]
	v_add_f64 v[100:101], v[198:199], -v[212:213]
	v_add_f64 v[198:199], v[164:165], v[168:169]
	v_add_f64 v[164:165], v[164:165], -v[168:169]
	v_add_f64 v[168:169], v[156:157], v[160:161]
	v_fmac_f64_e32 v[206:207], s[2:3], v[116:117]
	v_fmac_f64_e32 v[202:203], s[2:3], v[116:117]
	v_add_f64 v[126:127], v[200:201], -v[210:211]
	v_add_f64 v[116:117], v[102:103], -v[108:109]
	v_add_f64 v[108:109], v[102:103], v[108:109]
	v_add_f64 v[102:103], v[210:211], v[200:201]
	;; [unrolled: 1-line block ×3, first 2 shown]
	v_add_f64 v[166:167], v[166:167], -v[170:171]
	v_add_f64 v[170:171], v[158:159], v[162:163]
	v_add_f64 v[156:157], v[156:157], -v[160:161]
	v_add_f64 v[160:161], v[144:145], v[148:149]
	v_add_f64 v[144:145], v[148:149], -v[144:145]
	v_add_f64 v[148:149], v[168:169], v[198:199]
	v_add_f64 v[158:159], v[158:159], -v[162:163]
	v_add_f64 v[162:163], v[146:147], v[150:151]
	v_add_f64 v[146:147], v[150:151], -v[146:147]
	v_add_f64 v[150:151], v[170:171], v[200:201]
	v_add_f64 v[148:149], v[160:161], v[148:149]
	v_fmac_f64_e32 v[208:209], s[2:3], v[118:119]
	v_add_f64 v[150:151], v[162:163], v[150:151]
	v_add_f64 v[140:141], v[140:141], v[148:149]
	;; [unrolled: 1-line block ×3, first 2 shown]
	v_add_f64 v[134:135], v[94:95], -v[206:207]
	v_add_f64 v[118:119], v[202:203], v[110:111]
	v_add_f64 v[110:111], v[110:111], -v[202:203]
	v_add_f64 v[92:93], v[92:93], -v[208:209]
	v_add_f64 v[94:95], v[206:207], v[94:95]
	v_add_f64 v[202:203], v[168:169], -v[198:199]
	v_add_f64 v[204:205], v[170:171], -v[200:201]
	v_add_f64 v[198:199], v[198:199], -v[160:161]
	v_add_f64 v[200:201], v[200:201], -v[162:163]
	v_add_f64 v[168:169], v[160:161], -v[168:169]
	v_add_f64 v[170:171], v[162:163], -v[170:171]
	v_add_f64 v[206:207], v[144:145], v[156:157]
	v_add_f64 v[208:209], v[146:147], v[158:159]
	v_add_f64 v[212:213], v[146:147], -v[158:159]
	v_add_f64 v[158:159], v[158:159], -v[166:167]
	v_add_f64 v[142:143], v[142:143], v[150:151]
	v_pk_mov_b32 v[214:215], v[140:141], v[140:141] op_sel:[0,1]
	v_add_f64 v[210:211], v[144:145], -v[156:157]
	v_add_f64 v[144:145], v[164:165], -v[144:145]
	;; [unrolled: 1-line block ×4, first 2 shown]
	v_add_f64 v[160:161], v[206:207], v[164:165]
	v_add_f64 v[162:163], v[208:209], v[166:167]
	v_mul_f64 v[164:165], v[198:199], s[22:23]
	v_mul_f64 v[166:167], v[200:201], s[22:23]
	;; [unrolled: 1-line block ×6, first 2 shown]
	v_fmac_f64_e32 v[214:215], s[20:21], v[148:149]
	v_pk_mov_b32 v[148:149], v[142:143], v[142:143] op_sel:[0,1]
	v_mul_f64 v[206:207], v[210:211], s[24:25]
	v_mul_f64 v[210:211], v[156:157], s[6:7]
	v_fmac_f64_e32 v[148:149], s[20:21], v[150:151]
	v_fma_f64 v[150:151], v[202:203], s[8:9], -v[198:199]
	v_fma_f64 v[198:199], v[204:205], s[8:9], -v[200:201]
	;; [unrolled: 1-line block ×3, first 2 shown]
	v_fmac_f64_e32 v[212:213], s[18:19], v[146:147]
	v_fmac_f64_e32 v[164:165], s[4:5], v[168:169]
	v_fma_f64 v[168:169], v[204:205], s[16:17], -v[166:167]
	v_fmac_f64_e32 v[166:167], s[4:5], v[170:171]
	v_fma_f64 v[202:203], v[156:157], s[26:27], -v[206:207]
	v_fma_f64 v[156:157], v[158:159], s[26:27], -v[208:209]
	v_fmac_f64_e32 v[210:211], s[18:19], v[144:145]
	v_add_f64 v[158:159], v[198:199], v[148:149]
	v_add_f64 v[198:199], v[200:201], v[214:215]
	v_fmac_f64_e32 v[212:213], s[2:3], v[162:163]
	v_fmac_f64_e32 v[206:207], s[14:15], v[144:145]
	;; [unrolled: 1-line block ×3, first 2 shown]
	v_add_f64 v[144:145], v[164:165], v[214:215]
	v_add_f64 v[146:147], v[166:167], v[148:149]
	;; [unrolled: 1-line block ×4, first 2 shown]
	v_fmac_f64_e32 v[156:157], s[2:3], v[162:163]
	v_fmac_f64_e32 v[210:211], s[2:3], v[160:161]
	v_add_f64 v[164:165], v[198:199], v[212:213]
	v_add_f64 v[148:149], v[198:199], -v[212:213]
	s_waitcnt lgkmcnt(7)
	v_add_f64 v[198:199], v[188:189], v[192:193]
	v_add_f64 v[188:189], v[188:189], -v[192:193]
	v_add_f64 v[192:193], v[180:181], v[184:185]
	v_fmac_f64_e32 v[206:207], s[2:3], v[160:161]
	v_fmac_f64_e32 v[202:203], s[2:3], v[160:161]
	v_add_f64 v[166:167], v[200:201], -v[210:211]
	v_add_f64 v[160:161], v[150:151], -v[156:157]
	v_add_f64 v[156:157], v[150:151], v[156:157]
	v_add_f64 v[150:151], v[210:211], v[200:201]
	;; [unrolled: 1-line block ×3, first 2 shown]
	v_add_f64 v[190:191], v[190:191], -v[194:195]
	v_add_f64 v[194:195], v[182:183], v[186:187]
	v_add_f64 v[180:181], v[180:181], -v[184:185]
	v_add_f64 v[184:185], v[172:173], v[176:177]
	v_add_f64 v[172:173], v[176:177], -v[172:173]
	v_add_f64 v[176:177], v[192:193], v[198:199]
	v_add_f64 v[182:183], v[182:183], -v[186:187]
	v_add_f64 v[186:187], v[174:175], v[178:179]
	v_add_f64 v[174:175], v[178:179], -v[174:175]
	v_add_f64 v[178:179], v[194:195], v[200:201]
	v_add_f64 v[176:177], v[184:185], v[176:177]
	v_fmac_f64_e32 v[208:209], s[2:3], v[162:163]
	v_add_f64 v[178:179], v[186:187], v[178:179]
	v_add_f64 v[152:153], v[152:153], v[176:177]
	;; [unrolled: 1-line block ×3, first 2 shown]
	v_add_f64 v[170:171], v[146:147], -v[206:207]
	v_add_f64 v[162:163], v[202:203], v[158:159]
	v_add_f64 v[158:159], v[158:159], -v[202:203]
	v_add_f64 v[144:145], v[144:145], -v[208:209]
	v_add_f64 v[146:147], v[206:207], v[146:147]
	v_add_f64 v[202:203], v[192:193], -v[198:199]
	v_add_f64 v[204:205], v[194:195], -v[200:201]
	;; [unrolled: 1-line block ×6, first 2 shown]
	v_add_f64 v[206:207], v[172:173], v[180:181]
	v_add_f64 v[208:209], v[174:175], v[182:183]
	v_add_f64 v[210:211], v[172:173], -v[180:181]
	v_add_f64 v[212:213], v[174:175], -v[182:183]
	;; [unrolled: 1-line block ×3, first 2 shown]
	v_add_f64 v[154:155], v[154:155], v[178:179]
	v_pk_mov_b32 v[214:215], v[152:153], v[152:153] op_sel:[0,1]
	v_add_f64 v[172:173], v[188:189], -v[172:173]
	v_add_f64 v[174:175], v[190:191], -v[174:175]
	;; [unrolled: 1-line block ×3, first 2 shown]
	v_add_f64 v[184:185], v[206:207], v[188:189]
	v_add_f64 v[186:187], v[208:209], v[190:191]
	v_mul_f64 v[188:189], v[198:199], s[22:23]
	v_mul_f64 v[190:191], v[200:201], s[22:23]
	;; [unrolled: 1-line block ×7, first 2 shown]
	v_fmac_f64_e32 v[214:215], s[20:21], v[176:177]
	v_pk_mov_b32 v[176:177], v[154:155], v[154:155] op_sel:[0,1]
	v_mul_f64 v[212:213], v[182:183], s[6:7]
	v_fmac_f64_e32 v[176:177], s[20:21], v[178:179]
	v_fma_f64 v[178:179], v[202:203], s[8:9], -v[198:199]
	v_fma_f64 v[198:199], v[204:205], s[8:9], -v[200:201]
	;; [unrolled: 1-line block ×3, first 2 shown]
	v_fmac_f64_e32 v[188:189], s[4:5], v[192:193]
	v_fma_f64 v[192:193], v[204:205], s[16:17], -v[190:191]
	v_fma_f64 v[202:203], v[180:181], s[26:27], -v[206:207]
	;; [unrolled: 1-line block ×3, first 2 shown]
	v_fmac_f64_e32 v[210:211], s[18:19], v[172:173]
	v_fmac_f64_e32 v[190:191], s[4:5], v[194:195]
	;; [unrolled: 1-line block ×4, first 2 shown]
	v_add_f64 v[178:179], v[178:179], v[214:215]
	v_add_f64 v[182:183], v[198:199], v[176:177]
	;; [unrolled: 1-line block ×4, first 2 shown]
	v_fmac_f64_e32 v[180:181], s[2:3], v[186:187]
	v_fmac_f64_e32 v[210:211], s[2:3], v[184:185]
	;; [unrolled: 1-line block ×3, first 2 shown]
	v_add_f64 v[174:175], v[190:191], v[176:177]
	v_fmac_f64_e32 v[206:207], s[2:3], v[184:185]
	v_fmac_f64_e32 v[202:203], s[2:3], v[184:185]
	;; [unrolled: 1-line block ×3, first 2 shown]
	v_add_f64 v[190:191], v[200:201], -v[210:211]
	v_add_f64 v[184:185], v[178:179], -v[180:181]
	v_add_f64 v[180:181], v[178:179], v[180:181]
	v_add_f64 v[178:179], v[210:211], v[200:201]
	s_waitcnt lgkmcnt(0)
	v_add_f64 v[200:201], v[128:129], v[136:137]
	v_add_f64 v[128:129], v[128:129], -v[136:137]
	v_add_f64 v[136:137], v[112:113], v[120:121]
	v_add_f64 v[172:173], v[188:189], v[214:215]
	;; [unrolled: 1-line block ×3, first 2 shown]
	v_add_f64 v[176:177], v[198:199], -v[212:213]
	v_add_f64 v[198:199], v[130:131], v[138:139]
	v_add_f64 v[130:131], v[130:131], -v[138:139]
	v_add_f64 v[138:139], v[114:115], v[122:123]
	;; [unrolled: 2-line block ×6, first 2 shown]
	v_add_f64 v[104:105], v[114:115], v[104:105]
	v_fmac_f64_e32 v[208:209], s[2:3], v[186:187]
	v_add_f64 v[106:107], v[112:113], v[106:107]
	v_add_f64 v[0:1], v[0:1], v[104:105]
	;; [unrolled: 1-line block ×3, first 2 shown]
	v_add_f64 v[194:195], v[174:175], -v[206:207]
	v_add_f64 v[186:187], v[202:203], v[182:183]
	v_add_f64 v[182:183], v[182:183], -v[202:203]
	v_add_f64 v[172:173], v[172:173], -v[208:209]
	v_add_f64 v[174:175], v[206:207], v[174:175]
	v_add_f64 v[202:203], v[136:137], -v[200:201]
	v_add_f64 v[204:205], v[138:139], -v[198:199]
	;; [unrolled: 1-line block ×6, first 2 shown]
	v_add_f64 v[206:207], v[96:97], v[120:121]
	v_add_f64 v[208:209], v[98:99], v[122:123]
	;; [unrolled: 1-line block ×3, first 2 shown]
	v_pk_mov_b32 v[214:215], v[0:1], v[0:1] op_sel:[0,1]
	v_add_f64 v[210:211], v[96:97], -v[120:121]
	v_add_f64 v[212:213], v[98:99], -v[122:123]
	;; [unrolled: 1-line block ×6, first 2 shown]
	v_add_f64 v[112:113], v[206:207], v[128:129]
	v_add_f64 v[114:115], v[208:209], v[130:131]
	v_mul_f64 v[128:129], v[200:201], s[22:23]
	v_mul_f64 v[130:131], v[198:199], s[22:23]
	;; [unrolled: 1-line block ×4, first 2 shown]
	v_fmac_f64_e32 v[214:215], s[20:21], v[104:105]
	v_pk_mov_b32 v[104:105], v[2:3], v[2:3] op_sel:[0,1]
	v_fmac_f64_e32 v[104:105], s[20:21], v[106:107]
	v_fma_f64 v[106:107], v[202:203], s[8:9], -v[198:199]
	v_fma_f64 v[198:199], v[204:205], s[8:9], -v[200:201]
	;; [unrolled: 1-line block ×3, first 2 shown]
	v_fmac_f64_e32 v[128:129], s[4:5], v[136:137]
	v_add_f64 v[202:203], v[128:129], v[214:215]
	v_add_f64 v[128:129], v[198:199], v[104:105]
	v_mul_lo_u16_e32 v198, 7, v216
	v_lshlrev_b32_e32 v198, 4, v198
	s_waitcnt lgkmcnt(0)
	; wave barrier
	ds_write_b128 v198, v[4:7]
	ds_write_b128 v198, v[28:31] offset:16
	ds_write_b128 v198, v[24:27] offset:32
	;; [unrolled: 1-line block ×6, first 2 shown]
	v_mul_u32_u24_e32 v4, 7, v217
	v_lshlrev_b32_e32 v4, 4, v4
	buffer_store_dword v4, off, s[40:43], 0 offset:1760 ; 4-byte Folded Spill
	ds_write_b128 v4, v[32:35]
	ds_write_b128 v4, v[56:59] offset:16
	ds_write_b128 v4, v[52:55] offset:32
	ds_write_b128 v4, v[48:51] offset:48
	ds_write_b128 v4, v[44:47] offset:64
	ds_write_b128 v4, v[40:43] offset:80
	ds_write_b128 v4, v[36:39] offset:96
	v_mul_u32_u24_e32 v4, 7, v218
	v_lshlrev_b32_e32 v4, 4, v4
	v_mov_b32_e32 v12, v219
	buffer_store_dword v4, off, s[40:43], 0 offset:1752 ; 4-byte Folded Spill
	ds_write_b128 v4, v[60:63]
	ds_write_b128 v4, v[84:87] offset:16
	ds_write_b128 v4, v[80:83] offset:32
	ds_write_b128 v4, v[76:79] offset:48
	ds_write_b128 v4, v[72:75] offset:64
	ds_write_b128 v4, v[68:71] offset:80
	ds_write_b128 v4, v[64:67] offset:96
	v_mul_u32_u24_e32 v4, 7, v12
	v_lshlrev_b32_e32 v4, 4, v4
	v_mov_b32_e32 v46, v221
	;; [unrolled: 11-line block ×3, first 2 shown]
	buffer_store_dword v4, off, s[40:43], 0 offset:1044 ; 4-byte Folded Spill
	ds_write_b128 v4, v[140:143]
	ds_write_b128 v4, v[168:171] offset:16
	ds_write_b128 v4, v[164:167] offset:32
	ds_write_b128 v4, v[160:163] offset:48
	ds_write_b128 v4, v[156:159] offset:64
	ds_write_b128 v4, v[148:151] offset:80
	ds_write_b128 v4, v[144:147] offset:96
	v_mul_u32_u24_e32 v4, 7, v13
	v_mul_f64 v[206:207], v[210:211], s[24:25]
	v_mul_f64 v[208:209], v[212:213], s[24:25]
	;; [unrolled: 1-line block ×4, first 2 shown]
	v_lshlrev_b32_e32 v4, 4, v4
	v_mov_b32_e32 v47, v222
	v_fma_f64 v[136:137], v[204:205], s[16:17], -v[130:131]
	v_fmac_f64_e32 v[130:131], s[4:5], v[138:139]
	v_fma_f64 v[138:139], v[120:121], s[26:27], -v[206:207]
	v_fmac_f64_e32 v[206:207], s[14:15], v[96:97]
	;; [unrolled: 2-line block ×3, first 2 shown]
	v_fmac_f64_e32 v[210:211], s[18:19], v[96:97]
	v_fmac_f64_e32 v[212:213], s[18:19], v[98:99]
	buffer_store_dword v4, off, s[40:43], 0 offset:1040 ; 4-byte Folded Spill
	ds_write_b128 v4, v[152:155]
	ds_write_b128 v4, v[192:195] offset:16
	ds_write_b128 v4, v[188:191] offset:32
	;; [unrolled: 1-line block ×6, first 2 shown]
	v_mul_u32_u24_e32 v4, 7, v47
	v_add_f64 v[204:205], v[130:131], v[104:105]
	v_add_f64 v[122:123], v[106:107], v[214:215]
	;; [unrolled: 1-line block ×4, first 2 shown]
	v_fmac_f64_e32 v[206:207], s[2:3], v[112:113]
	v_fmac_f64_e32 v[208:209], s[2:3], v[114:115]
	;; [unrolled: 1-line block ×6, first 2 shown]
	v_lshlrev_b32_e32 v4, 4, v4
	v_add_f64 v[104:105], v[202:203], v[208:209]
	v_add_f64 v[106:107], v[204:205], -v[206:207]
	v_add_f64 v[96:97], v[130:131], v[212:213]
	v_add_f64 v[98:99], v[136:137], -v[210:211]
	v_add_f64 v[112:113], v[122:123], -v[120:121]
	v_add_f64 v[114:115], v[138:139], v[128:129]
	v_add_f64 v[120:121], v[122:123], v[120:121]
	v_add_f64 v[122:123], v[128:129], -v[138:139]
	v_add_f64 v[128:129], v[130:131], -v[212:213]
	v_add_f64 v[130:131], v[210:211], v[136:137]
	v_add_f64 v[136:137], v[202:203], -v[208:209]
	v_add_f64 v[138:139], v[206:207], v[204:205]
	buffer_store_dword v4, off, s[40:43], 0 offset:780 ; 4-byte Folded Spill
	ds_write_b128 v4, v[0:3]
	ds_write_b128 v4, v[104:107] offset:16
	ds_write_b128 v4, v[96:99] offset:32
	;; [unrolled: 1-line block ×6, first 2 shown]
	v_mov_b32_e32 v4, 37
	v_mul_lo_u16_sdwa v0, v216, v4 dst_sel:DWORD dst_unused:UNUSED_PAD src0_sel:BYTE_0 src1_sel:DWORD
	v_sub_u16_sdwa v1, v216, v0 dst_sel:DWORD dst_unused:UNUSED_PAD src0_sel:DWORD src1_sel:BYTE_1
	v_lshrrev_b16_e32 v1, 1, v1
	v_and_b32_e32 v1, 0x7f, v1
	v_add_u16_sdwa v0, v1, v0 dst_sel:DWORD dst_unused:UNUSED_PAD src0_sel:DWORD src1_sel:BYTE_1
	v_lshrrev_b16_e32 v1, 2, v0
	v_mul_lo_u16_e32 v0, 7, v1
	v_sub_u16_e32 v0, v216, v0
	v_accvgpr_write_b32 a12, v1
	v_and_b32_e32 v1, 0xff, v0
	v_mul_u32_u24_e32 v0, 6, v1
	s_waitcnt lgkmcnt(0)
	; wave barrier
	s_waitcnt lgkmcnt(0)
	ds_read_b128 v[16:19], v196
	ds_read_b128 v[192:195], v196 offset:5488
	ds_read_b128 v[188:191], v196 offset:10976
	;; [unrolled: 1-line block ×48, first 2 shown]
	buffer_store_dword v216, off, s[40:43], 0 ; 4-byte Folded Spill
	v_lshlrev_b32_e32 v5, 4, v0
	v_accvgpr_write_b32 a33, v198
	global_load_dwordx4 v[8:11], v5, s[10:11] offset:48
	global_load_dwordx4 v[36:39], v5, s[10:11] offset:32
	;; [unrolled: 1-line block ×3, first 2 shown]
	global_load_dwordx4 v[202:205], v5, s[10:11]
	v_accvgpr_write_b32 a13, v1
	v_accvgpr_write_b32 a9, v13
	;; [unrolled: 1-line block ×4, first 2 shown]
	s_waitcnt vmcnt(0) lgkmcnt(14)
	v_mul_f64 v[0:1], v[194:195], v[204:205]
	v_fma_f64 v[44:45], v[192:193], v[202:203], -v[0:1]
	buffer_store_dword v202, off, s[40:43], 0 offset:1024 ; 4-byte Folded Spill
	s_nop 0
	buffer_store_dword v203, off, s[40:43], 0 offset:1028 ; 4-byte Folded Spill
	buffer_store_dword v204, off, s[40:43], 0 offset:1032 ; 4-byte Folded Spill
	buffer_store_dword v205, off, s[40:43], 0 offset:1036 ; 4-byte Folded Spill
	buffer_store_dword v198, off, s[40:43], 0 offset:976 ; 4-byte Folded Spill
	s_nop 0
	buffer_store_dword v199, off, s[40:43], 0 offset:980 ; 4-byte Folded Spill
	buffer_store_dword v200, off, s[40:43], 0 offset:984 ; 4-byte Folded Spill
	;; [unrolled: 1-line block ×3, first 2 shown]
	v_mul_f64 v[2:3], v[192:193], v[204:205]
	v_mul_f64 v[0:1], v[190:191], v[200:201]
	v_fma_f64 v[248:249], v[188:189], v[198:199], -v[0:1]
	v_mul_f64 v[0:1], v[186:187], v[38:39]
	v_fma_f64 v[252:253], v[184:185], v[36:37], -v[0:1]
	buffer_store_dword v36, off, s[40:43], 0 offset:992 ; 4-byte Folded Spill
	s_nop 0
	buffer_store_dword v37, off, s[40:43], 0 offset:996 ; 4-byte Folded Spill
	buffer_store_dword v38, off, s[40:43], 0 offset:1000 ; 4-byte Folded Spill
	;; [unrolled: 1-line block ×4, first 2 shown]
	s_nop 0
	buffer_store_dword v9, off, s[40:43], 0 offset:1060 ; 4-byte Folded Spill
	buffer_store_dword v10, off, s[40:43], 0 offset:1064 ; 4-byte Folded Spill
	;; [unrolled: 1-line block ×3, first 2 shown]
	v_mul_f64 v[250:251], v[188:189], v[200:201]
	v_fmac_f64_e32 v[2:3], v[194:195], v[202:203]
	v_fmac_f64_e32 v[250:251], v[190:191], v[198:199]
	v_mul_f64 v[254:255], v[184:185], v[38:39]
	v_mul_f64 v[0:1], v[182:183], v[10:11]
	;; [unrolled: 1-line block ×3, first 2 shown]
	v_fmac_f64_e32 v[254:255], v[186:187], v[36:37]
	v_fma_f64 v[36:37], v[180:181], v[8:9], -v[0:1]
	v_fmac_f64_e32 v[6:7], v[182:183], v[8:9]
	global_load_dwordx4 v[180:183], v5, s[10:11] offset:80
	global_load_dwordx4 v[184:187], v5, s[10:11] offset:64
	s_waitcnt vmcnt(0)
	buffer_store_dword v184, off, s[40:43], 0 offset:1088 ; 4-byte Folded Spill
	s_nop 0
	buffer_store_dword v185, off, s[40:43], 0 offset:1092 ; 4-byte Folded Spill
	buffer_store_dword v186, off, s[40:43], 0 offset:1096 ; 4-byte Folded Spill
	;; [unrolled: 1-line block ×3, first 2 shown]
	v_mul_lo_u16_sdwa v5, v217, v4 dst_sel:DWORD dst_unused:UNUSED_PAD src0_sel:BYTE_0 src1_sel:DWORD
	v_sub_u16_sdwa v38, v217, v5 dst_sel:DWORD dst_unused:UNUSED_PAD src0_sel:DWORD src1_sel:BYTE_1
	v_lshrrev_b16_e32 v38, 1, v38
	v_and_b32_e32 v38, 0x7f, v38
	v_add_u16_sdwa v5, v38, v5 dst_sel:DWORD dst_unused:UNUSED_PAD src0_sel:DWORD src1_sel:BYTE_1
	v_lshrrev_b16_e32 v38, 2, v5
	v_mul_lo_u16_e32 v5, 7, v38
	v_sub_u16_e32 v5, v217, v5
	v_accvgpr_write_b32 a14, v38
	v_and_b32_e32 v38, 0xff, v5
	v_mul_u32_u24_e32 v5, 6, v38
	v_lshlrev_b32_e32 v5, 4, v5
	v_accvgpr_write_b32 a15, v38
	v_mov_b32_e32 v39, v12
	v_accvgpr_write_b32 a7, v39
	v_mul_f64 v[0:1], v[178:179], v[186:187]
	v_fma_f64 v[8:9], v[176:177], v[184:185], -v[0:1]
	v_mul_f64 v[0:1], v[174:175], v[182:183]
	v_fma_f64 v[0:1], v[172:173], v[180:181], -v[0:1]
	buffer_store_dword v180, off, s[40:43], 0 offset:1104 ; 4-byte Folded Spill
	s_nop 0
	buffer_store_dword v181, off, s[40:43], 0 offset:1108 ; 4-byte Folded Spill
	buffer_store_dword v182, off, s[40:43], 0 offset:1112 ; 4-byte Folded Spill
	;; [unrolled: 1-line block ×3, first 2 shown]
	v_mul_f64 v[10:11], v[176:177], v[186:187]
	v_fmac_f64_e32 v[10:11], v[178:179], v[184:185]
	v_mul_f64 v[14:15], v[172:173], v[182:183]
	v_fmac_f64_e32 v[14:15], v[174:175], v[180:181]
	global_load_dwordx4 v[174:177], v5, s[10:11] offset:48
	global_load_dwordx4 v[178:181], v5, s[10:11] offset:32
	;; [unrolled: 1-line block ×3, first 2 shown]
	global_load_dwordx4 v[186:189], v5, s[10:11]
	s_waitcnt vmcnt(0)
	v_mul_f64 v[172:173], v[170:171], v[188:189]
	v_fma_f64 v[228:229], v[168:169], v[186:187], -v[172:173]
	buffer_store_dword v186, off, s[40:43], 0 offset:1376 ; 4-byte Folded Spill
	s_nop 0
	buffer_store_dword v187, off, s[40:43], 0 offset:1380 ; 4-byte Folded Spill
	buffer_store_dword v188, off, s[40:43], 0 offset:1384 ; 4-byte Folded Spill
	buffer_store_dword v189, off, s[40:43], 0 offset:1388 ; 4-byte Folded Spill
	buffer_store_dword v182, off, s[40:43], 0 offset:1392 ; 4-byte Folded Spill
	s_nop 0
	buffer_store_dword v183, off, s[40:43], 0 offset:1396 ; 4-byte Folded Spill
	buffer_store_dword v184, off, s[40:43], 0 offset:1400 ; 4-byte Folded Spill
	buffer_store_dword v185, off, s[40:43], 0 offset:1404 ; 4-byte Folded Spill
	;; [unrolled: 5-line block ×4, first 2 shown]
	v_mul_f64 v[230:231], v[168:169], v[188:189]
	v_mul_f64 v[168:169], v[166:167], v[184:185]
	v_fma_f64 v[232:233], v[164:165], v[182:183], -v[168:169]
	v_mul_f64 v[234:235], v[164:165], v[184:185]
	v_mul_f64 v[164:165], v[162:163], v[180:181]
	v_fma_f64 v[224:225], v[160:161], v[178:179], -v[164:165]
	v_mul_f64 v[226:227], v[160:161], v[180:181]
	v_mul_f64 v[160:161], v[158:159], v[176:177]
	;; [unrolled: 1-line block ×3, first 2 shown]
	v_fmac_f64_e32 v[226:227], v[162:163], v[178:179]
	v_fma_f64 v[236:237], v[156:157], v[174:175], -v[160:161]
	v_fmac_f64_e32 v[238:239], v[158:159], v[174:175]
	global_load_dwordx4 v[158:161], v5, s[10:11] offset:80
	global_load_dwordx4 v[162:165], v5, s[10:11] offset:64
	s_waitcnt vmcnt(0)
	buffer_store_dword v162, off, s[40:43], 0 offset:1472 ; 4-byte Folded Spill
	s_nop 0
	buffer_store_dword v163, off, s[40:43], 0 offset:1476 ; 4-byte Folded Spill
	buffer_store_dword v164, off, s[40:43], 0 offset:1480 ; 4-byte Folded Spill
	;; [unrolled: 1-line block ×4, first 2 shown]
	s_nop 0
	buffer_store_dword v159, off, s[40:43], 0 offset:1492 ; 4-byte Folded Spill
	buffer_store_dword v160, off, s[40:43], 0 offset:1496 ; 4-byte Folded Spill
	;; [unrolled: 1-line block ×3, first 2 shown]
	v_mul_lo_u16_sdwa v5, v218, v4 dst_sel:DWORD dst_unused:UNUSED_PAD src0_sel:BYTE_0 src1_sel:DWORD
	v_sub_u16_sdwa v38, v218, v5 dst_sel:DWORD dst_unused:UNUSED_PAD src0_sel:DWORD src1_sel:BYTE_1
	v_lshrrev_b16_e32 v38, 1, v38
	v_and_b32_e32 v38, 0x7f, v38
	v_add_u16_sdwa v5, v38, v5 dst_sel:DWORD dst_unused:UNUSED_PAD src0_sel:DWORD src1_sel:BYTE_1
	v_lshrrev_b16_e32 v38, 2, v5
	v_mul_lo_u16_e32 v5, 7, v38
	v_sub_u16_e32 v5, v218, v5
	v_accvgpr_write_b32 a20, v38
	v_and_b32_e32 v38, 0xff, v5
	v_mul_u32_u24_e32 v5, 6, v38
	v_lshlrev_b32_e32 v5, 4, v5
	v_accvgpr_write_b32 a21, v38
	v_fmac_f64_e32 v[230:231], v[170:171], v[186:187]
	v_fmac_f64_e32 v[234:235], v[166:167], v[182:183]
	v_mul_f64 v[156:157], v[154:155], v[164:165]
	v_fma_f64 v[240:241], v[152:153], v[162:163], -v[156:157]
	v_mul_f64 v[242:243], v[152:153], v[164:165]
	v_mul_f64 v[152:153], v[150:151], v[160:161]
	;; [unrolled: 1-line block ×3, first 2 shown]
	v_fmac_f64_e32 v[242:243], v[154:155], v[162:163]
	v_fma_f64 v[244:245], v[148:149], v[158:159], -v[152:153]
	v_fmac_f64_e32 v[246:247], v[150:151], v[158:159]
	global_load_dwordx4 v[150:153], v5, s[10:11] offset:48
	global_load_dwordx4 v[154:157], v5, s[10:11] offset:32
	;; [unrolled: 1-line block ×3, first 2 shown]
	global_load_dwordx4 v[162:165], v5, s[10:11]
	s_waitcnt vmcnt(0)
	v_mul_f64 v[148:149], v[146:147], v[164:165]
	v_fma_f64 v[208:209], v[144:145], v[162:163], -v[148:149]
	buffer_store_dword v162, off, s[40:43], 0 offset:1668 ; 4-byte Folded Spill
	s_nop 0
	buffer_store_dword v163, off, s[40:43], 0 offset:1672 ; 4-byte Folded Spill
	buffer_store_dword v164, off, s[40:43], 0 offset:1676 ; 4-byte Folded Spill
	buffer_store_dword v165, off, s[40:43], 0 offset:1680 ; 4-byte Folded Spill
	buffer_store_dword v158, off, s[40:43], 0 offset:1684 ; 4-byte Folded Spill
	s_nop 0
	buffer_store_dword v159, off, s[40:43], 0 offset:1688 ; 4-byte Folded Spill
	buffer_store_dword v160, off, s[40:43], 0 offset:1692 ; 4-byte Folded Spill
	buffer_store_dword v161, off, s[40:43], 0 offset:1696 ; 4-byte Folded Spill
	buffer_store_dword v154, off, s[40:43], 0 offset:1700 ; 4-byte Folded Spill
	s_nop 0
	buffer_store_dword v155, off, s[40:43], 0 offset:1704 ; 4-byte Folded Spill
	buffer_store_dword v156, off, s[40:43], 0 offset:1708 ; 4-byte Folded Spill
	buffer_store_dword v157, off, s[40:43], 0 offset:1712 ; 4-byte Folded Spill
	buffer_store_dword v150, off, s[40:43], 0 offset:1716 ; 4-byte Folded Spill
	s_nop 0
	buffer_store_dword v151, off, s[40:43], 0 offset:1720 ; 4-byte Folded Spill
	buffer_store_dword v152, off, s[40:43], 0 offset:1724 ; 4-byte Folded Spill
	buffer_store_dword v153, off, s[40:43], 0 offset:1728 ; 4-byte Folded Spill
	v_mul_f64 v[210:211], v[144:145], v[164:165]
	v_mul_f64 v[144:145], v[142:143], v[160:161]
	v_fma_f64 v[200:201], v[140:141], v[158:159], -v[144:145]
	v_mul_f64 v[202:203], v[140:141], v[160:161]
	v_mul_f64 v[140:141], v[138:139], v[156:157]
	v_fma_f64 v[204:205], v[136:137], v[154:155], -v[140:141]
	v_mul_f64 v[206:207], v[136:137], v[156:157]
	v_mul_f64 v[136:137], v[134:135], v[152:153]
	;; [unrolled: 1-line block ×3, first 2 shown]
	v_fmac_f64_e32 v[206:207], v[138:139], v[154:155]
	v_fma_f64 v[212:213], v[132:133], v[150:151], -v[136:137]
	v_fmac_f64_e32 v[214:215], v[134:135], v[150:151]
	global_load_dwordx4 v[134:137], v5, s[10:11] offset:80
	global_load_dwordx4 v[138:141], v5, s[10:11] offset:64
	s_waitcnt vmcnt(0)
	buffer_store_dword v138, off, s[40:43], 0 offset:1784 ; 4-byte Folded Spill
	s_nop 0
	buffer_store_dword v139, off, s[40:43], 0 offset:1788 ; 4-byte Folded Spill
	buffer_store_dword v140, off, s[40:43], 0 offset:1792 ; 4-byte Folded Spill
	;; [unrolled: 1-line block ×4, first 2 shown]
	s_nop 0
	buffer_store_dword v135, off, s[40:43], 0 offset:1804 ; 4-byte Folded Spill
	buffer_store_dword v136, off, s[40:43], 0 offset:1808 ; 4-byte Folded Spill
	;; [unrolled: 1-line block ×3, first 2 shown]
	v_mul_lo_u16_sdwa v5, v39, v4 dst_sel:DWORD dst_unused:UNUSED_PAD src0_sel:BYTE_0 src1_sel:DWORD
	v_sub_u16_sdwa v38, v39, v5 dst_sel:DWORD dst_unused:UNUSED_PAD src0_sel:DWORD src1_sel:BYTE_1
	v_lshrrev_b16_e32 v38, 1, v38
	v_and_b32_e32 v38, 0x7f, v38
	v_add_u16_sdwa v5, v38, v5 dst_sel:DWORD dst_unused:UNUSED_PAD src0_sel:DWORD src1_sel:BYTE_1
	v_lshrrev_b16_e32 v12, 2, v5
	v_mul_lo_u16_e32 v5, 7, v12
	v_sub_u16_e32 v5, v39, v5
	v_accvgpr_write_b32 a22, v12
	v_and_b32_e32 v12, 0xff, v5
	v_mul_u32_u24_e32 v5, 6, v12
	v_lshlrev_b32_e32 v5, 4, v5
	v_mov_b32_e32 v38, v46
	v_mul_lo_u16_sdwa v4, v38, v4 dst_sel:DWORD dst_unused:UNUSED_PAD src0_sel:BYTE_0 src1_sel:DWORD
	v_fmac_f64_e32 v[210:211], v[146:147], v[162:163]
	v_fmac_f64_e32 v[202:203], v[142:143], v[158:159]
	v_accvgpr_write_b32 a23, v12
	v_mul_f64 v[132:133], v[130:131], v[140:141]
	v_fma_f64 v[216:217], v[128:129], v[138:139], -v[132:133]
	v_mul_f64 v[218:219], v[128:129], v[140:141]
	v_mul_f64 v[128:129], v[126:127], v[136:137]
	;; [unrolled: 1-line block ×3, first 2 shown]
	v_fmac_f64_e32 v[218:219], v[130:131], v[138:139]
	v_fma_f64 v[220:221], v[124:125], v[134:135], -v[128:129]
	v_fmac_f64_e32 v[222:223], v[126:127], v[134:135]
	global_load_dwordx4 v[126:129], v5, s[10:11] offset:48
	global_load_dwordx4 v[130:133], v5, s[10:11] offset:32
	;; [unrolled: 1-line block ×3, first 2 shown]
	global_load_dwordx4 v[138:141], v5, s[10:11]
	s_waitcnt vmcnt(3)
	v_accvgpr_write_b32 a211, v129
	s_waitcnt vmcnt(2)
	v_accvgpr_write_b32 a223, v133
	s_waitcnt vmcnt(1)
	v_mul_f64 v[198:199], v[116:117], v[136:137]
	s_waitcnt vmcnt(0)
	v_mul_f64 v[124:125], v[122:123], v[140:141]
	v_fma_f64 v[124:125], v[120:121], v[138:139], -v[124:125]
	v_mul_f64 v[120:121], v[120:121], v[140:141]
	v_fmac_f64_e32 v[120:121], v[122:123], v[138:139]
	v_mul_f64 v[122:123], v[118:119], v[136:137]
	v_fma_f64 v[122:123], v[116:117], v[134:135], -v[122:123]
	v_mul_f64 v[116:117], v[114:115], v[132:133]
	v_fma_f64 v[116:117], v[112:113], v[130:131], -v[116:117]
	v_mul_f64 v[112:113], v[112:113], v[132:133]
	v_fmac_f64_e32 v[112:113], v[114:115], v[130:131]
	v_mul_f64 v[114:115], v[110:111], v[128:129]
	v_fma_f64 v[114:115], v[108:109], v[126:127], -v[114:115]
	v_mul_f64 v[108:109], v[108:109], v[128:129]
	v_accvgpr_write_b32 a222, v132
	v_accvgpr_write_b32 a221, v131
	;; [unrolled: 1-line block ×3, first 2 shown]
	v_fmac_f64_e32 v[108:109], v[110:111], v[126:127]
	v_accvgpr_write_b32 a210, v128
	v_accvgpr_write_b32 a209, v127
	;; [unrolled: 1-line block ×3, first 2 shown]
	global_load_dwordx4 v[126:129], v5, s[10:11] offset:80
	global_load_dwordx4 v[130:133], v5, s[10:11] offset:64
	v_sub_u16_sdwa v5, v38, v4 dst_sel:DWORD dst_unused:UNUSED_PAD src0_sel:DWORD src1_sel:BYTE_1
	v_lshrrev_b16_e32 v5, 1, v5
	v_and_b32_e32 v5, 0x7f, v5
	v_add_u16_sdwa v4, v5, v4 dst_sel:DWORD dst_unused:UNUSED_PAD src0_sel:DWORD src1_sel:BYTE_1
	v_lshrrev_b16_e32 v5, 2, v4
	v_mul_lo_u16_e32 v4, 7, v5
	v_sub_u16_e32 v4, v38, v4
	v_accvgpr_write_b32 a24, v5
	v_and_b32_e32 v5, 0xff, v4
	v_mul_u32_u24_e32 v4, 6, v5
	v_accvgpr_write_b32 a235, v141
	v_accvgpr_write_b32 a231, v137
	v_lshlrev_b32_e32 v4, 4, v4
	v_accvgpr_write_b32 a234, v140
	v_accvgpr_write_b32 a233, v139
	v_accvgpr_write_b32 a232, v138
	v_accvgpr_write_b32 a230, v136
	v_accvgpr_write_b32 a229, v135
	v_accvgpr_write_b32 a228, v134
	v_fmac_f64_e32 v[198:199], v[118:119], v[134:135]
	v_mov_b32_e32 v38, v13
	v_accvgpr_write_b32 a25, v5
	s_waitcnt vmcnt(1)
	v_accvgpr_write_b32 a203, v129
	s_waitcnt vmcnt(0)
	v_mul_f64 v[110:111], v[106:107], v[132:133]
	v_fma_f64 v[110:111], v[104:105], v[130:131], -v[110:111]
	v_mul_f64 v[104:105], v[104:105], v[132:133]
	v_fmac_f64_e32 v[104:105], v[106:107], v[130:131]
	v_accvgpr_write_b32 a207, v133
	v_mul_f64 v[106:107], v[102:103], v[128:129]
	v_accvgpr_write_b32 a206, v132
	v_accvgpr_write_b32 a205, v131
	;; [unrolled: 1-line block ×3, first 2 shown]
	v_fma_f64 v[106:107], v[100:101], v[126:127], -v[106:107]
	v_mul_f64 v[100:101], v[100:101], v[128:129]
	v_accvgpr_write_b32 a202, v128
	v_accvgpr_write_b32 a201, v127
	;; [unrolled: 1-line block ×3, first 2 shown]
	global_load_dwordx4 v[136:139], v4, s[10:11] offset:48
	global_load_dwordx4 v[128:131], v4, s[10:11] offset:32
	;; [unrolled: 1-line block ×3, first 2 shown]
	global_load_dwordx4 v[144:147], v4, s[10:11]
	v_fmac_f64_e32 v[100:101], v[102:103], v[126:127]
	s_waitcnt vmcnt(1)
	v_mul_f64 v[126:127], v[92:93], v[142:143]
	s_waitcnt vmcnt(0)
	v_mul_f64 v[102:103], v[98:99], v[146:147]
	v_fma_f64 v[132:133], v[96:97], v[144:145], -v[102:103]
	v_mul_f64 v[134:135], v[96:97], v[146:147]
	v_mul_f64 v[96:97], v[94:95], v[142:143]
	v_fma_f64 v[148:149], v[92:93], v[140:141], -v[96:97]
	v_fmac_f64_e32 v[126:127], v[94:95], v[140:141]
	v_pk_mov_b32 v[94:95], v[128:129], v[128:129] op_sel:[0,1]
	v_pk_mov_b32 v[96:97], v[130:131], v[130:131] op_sel:[0,1]
	v_mul_f64 v[92:93], v[90:91], v[96:97]
	v_mul_f64 v[130:131], v[88:89], v[96:97]
	v_fma_f64 v[128:129], v[88:89], v[94:95], -v[92:93]
	v_fmac_f64_e32 v[130:131], v[90:91], v[94:95]
	v_pk_mov_b32 v[90:91], v[136:137], v[136:137] op_sel:[0,1]
	v_pk_mov_b32 v[92:93], v[138:139], v[138:139] op_sel:[0,1]
	v_mul_f64 v[88:89], v[86:87], v[92:93]
	v_mul_f64 v[138:139], v[84:85], v[92:93]
	v_accvgpr_write_b32 a153, v93
	v_fma_f64 v[136:137], v[84:85], v[90:91], -v[88:89]
	v_fmac_f64_e32 v[138:139], v[86:87], v[90:91]
	v_accvgpr_write_b32 a152, v92
	v_accvgpr_write_b32 a151, v91
	;; [unrolled: 1-line block ×3, first 2 shown]
	global_load_dwordx4 v[86:89], v4, s[10:11] offset:80
	global_load_dwordx4 v[90:93], v4, s[10:11] offset:64
	v_mul_u32_u24_sdwa v4, v38, s35 dst_sel:DWORD dst_unused:UNUSED_PAD src0_sel:WORD_0 src1_sel:DWORD
	v_sub_u16_sdwa v5, v38, v4 dst_sel:DWORD dst_unused:UNUSED_PAD src0_sel:DWORD src1_sel:WORD_1
	v_lshrrev_b16_e32 v5, 1, v5
	v_add_u16_sdwa v4, v5, v4 dst_sel:DWORD dst_unused:UNUSED_PAD src0_sel:DWORD src1_sel:WORD_1
	v_lshrrev_b16_e32 v5, 2, v4
	v_mul_lo_u16_e32 v4, 7, v5
	v_accvgpr_write_b32 a26, v5
	v_sub_u16_e32 v5, v38, v4
	v_accvgpr_write_b32 a165, v147
	v_accvgpr_write_b32 a161, v143
	v_mul_lo_u16_e32 v4, 6, v5
	v_accvgpr_write_b32 a164, v146
	v_accvgpr_write_b32 a163, v145
	;; [unrolled: 1-line block ×6, first 2 shown]
	v_lshlrev_b32_e32 v4, 4, v4
	v_fmac_f64_e32 v[134:135], v[98:99], v[144:145]
	v_mov_b32_e32 v38, v47
	v_accvgpr_write_b32 a27, v5
	v_accvgpr_write_b32 a157, v97
	;; [unrolled: 1-line block ×5, first 2 shown]
	s_waitcnt vmcnt(1)
	v_mul_f64 v[146:147], v[76:77], v[88:89]
	s_waitcnt vmcnt(0)
	v_mul_f64 v[84:85], v[82:83], v[92:93]
	v_fma_f64 v[140:141], v[80:81], v[90:91], -v[84:85]
	v_mul_f64 v[142:143], v[80:81], v[92:93]
	v_accvgpr_write_b32 a133, v93
	v_mul_f64 v[80:81], v[78:79], v[88:89]
	v_accvgpr_write_b32 a129, v89
	v_fmac_f64_e32 v[142:143], v[82:83], v[90:91]
	v_accvgpr_write_b32 a132, v92
	v_accvgpr_write_b32 a131, v91
	;; [unrolled: 1-line block ×3, first 2 shown]
	v_fma_f64 v[144:145], v[76:77], v[86:87], -v[80:81]
	v_fmac_f64_e32 v[146:147], v[78:79], v[86:87]
	v_accvgpr_write_b32 a128, v88
	v_accvgpr_write_b32 a127, v87
	;; [unrolled: 1-line block ×3, first 2 shown]
	global_load_dwordx4 v[78:81], v4, s[10:11] offset:48
	global_load_dwordx4 v[82:85], v4, s[10:11] offset:32
	global_load_dwordx4 v[86:89], v4, s[10:11] offset:16
	global_load_dwordx4 v[90:93], v4, s[10:11]
	s_waitcnt vmcnt(3) lgkmcnt(9)
	v_mul_f64 v[162:163], v[60:61], v[80:81]
	s_waitcnt vmcnt(2)
	v_mul_f64 v[150:151], v[64:65], v[84:85]
	s_waitcnt vmcnt(1)
	;; [unrolled: 2-line block ×3, first 2 shown]
	v_mul_f64 v[76:77], v[74:75], v[92:93]
	v_fma_f64 v[152:153], v[72:73], v[90:91], -v[76:77]
	v_mul_f64 v[154:155], v[72:73], v[92:93]
	v_mul_f64 v[72:73], v[70:71], v[88:89]
	v_fma_f64 v[156:157], v[68:69], v[86:87], -v[72:73]
	v_mul_f64 v[68:69], v[66:67], v[84:85]
	v_fma_f64 v[172:173], v[64:65], v[82:83], -v[68:69]
	v_mul_f64 v[64:65], v[62:63], v[80:81]
	v_fmac_f64_e32 v[150:151], v[66:67], v[82:83]
	v_fma_f64 v[160:161], v[60:61], v[78:79], -v[64:65]
	v_fmac_f64_e32 v[162:163], v[62:63], v[78:79]
	global_load_dwordx4 v[62:65], v4, s[10:11] offset:80
	global_load_dwordx4 v[66:69], v4, s[10:11] offset:64
	v_mul_u32_u24_sdwa v4, v38, s35 dst_sel:DWORD dst_unused:UNUSED_PAD src0_sel:WORD_0 src1_sel:DWORD
	v_sub_u16_sdwa v5, v38, v4 dst_sel:DWORD dst_unused:UNUSED_PAD src0_sel:DWORD src1_sel:WORD_1
	v_lshrrev_b16_e32 v5, 1, v5
	v_add_u16_sdwa v4, v5, v4 dst_sel:DWORD dst_unused:UNUSED_PAD src0_sel:DWORD src1_sel:WORD_1
	v_lshrrev_b16_e32 v5, 2, v4
	v_mul_lo_u16_e32 v4, 7, v5
	v_accvgpr_write_b32 a56, v5
	v_sub_u16_e32 v5, v38, v4
	v_mul_lo_u16_e32 v4, 6, v5
	v_lshlrev_b32_e32 v4, 4, v4
	v_accvgpr_write_b32 a57, v5
	v_fmac_f64_e32 v[154:155], v[74:75], v[90:91]
	v_fmac_f64_e32 v[158:159], v[70:71], v[86:87]
	v_accvgpr_write_b32 a109, v85
	v_accvgpr_write_b32 a113, v89
	;; [unrolled: 1-line block ×13, first 2 shown]
	v_add_f64 v[78:79], v[206:207], v[214:215]
	v_add_f64 v[80:81], v[212:213], -v[204:205]
	v_add_f64 v[82:83], v[214:215], -v[206:207]
	v_accvgpr_write_b32 a116, v92
	v_accvgpr_write_b32 a115, v91
	;; [unrolled: 1-line block ×3, first 2 shown]
	s_movk_i32 s35, 0x60
	s_waitcnt vmcnt(1) lgkmcnt(7)
	v_mul_f64 v[170:171], v[52:53], v[64:65]
	s_waitcnt vmcnt(0)
	v_mul_f64 v[60:61], v[58:59], v[68:69]
	v_fma_f64 v[164:165], v[56:57], v[66:67], -v[60:61]
	v_mul_f64 v[166:167], v[56:57], v[68:69]
	v_accvgpr_write_b32 a93, v69
	v_mul_f64 v[56:57], v[54:55], v[64:65]
	v_accvgpr_write_b32 a85, v65
	v_fmac_f64_e32 v[166:167], v[58:59], v[66:67]
	v_accvgpr_write_b32 a92, v68
	v_accvgpr_write_b32 a91, v67
	;; [unrolled: 1-line block ×3, first 2 shown]
	v_fma_f64 v[168:169], v[52:53], v[62:63], -v[56:57]
	v_fmac_f64_e32 v[170:171], v[54:55], v[62:63]
	v_accvgpr_write_b32 a84, v64
	v_accvgpr_write_b32 a83, v63
	;; [unrolled: 1-line block ×3, first 2 shown]
	global_load_dwordx4 v[54:57], v4, s[10:11] offset:48
	global_load_dwordx4 v[58:61], v4, s[10:11] offset:32
	;; [unrolled: 1-line block ×3, first 2 shown]
	global_load_dwordx4 v[66:69], v4, s[10:11]
	s_waitcnt vmcnt(3) lgkmcnt(2)
	v_mul_f64 v[186:187], v[28:29], v[56:57]
	s_waitcnt vmcnt(2)
	v_mul_f64 v[174:175], v[32:33], v[60:61]
	s_waitcnt vmcnt(1)
	;; [unrolled: 2-line block ×3, first 2 shown]
	v_mul_f64 v[52:53], v[50:51], v[68:69]
	v_fma_f64 v[180:181], v[48:49], v[66:67], -v[52:53]
	v_mul_f64 v[182:183], v[48:49], v[68:69]
	v_mul_f64 v[48:49], v[42:43], v[64:65]
	v_fma_f64 v[176:177], v[40:41], v[62:63], -v[48:49]
	v_mul_f64 v[40:41], v[34:35], v[60:61]
	v_fma_f64 v[12:13], v[32:33], v[58:59], -v[40:41]
	;; [unrolled: 2-line block ×3, first 2 shown]
	v_fmac_f64_e32 v[186:187], v[30:31], v[54:55]
	global_load_dwordx4 v[30:33], v4, s[10:11] offset:80
	global_load_dwordx4 v[38:41], v4, s[10:11] offset:64
	v_accvgpr_write_b32 a37, v13
	v_accvgpr_write_b32 a36, v12
	v_add_f64 v[12:13], v[248:249], v[8:9]
	v_add_f64 v[4:5], v[248:249], -v[8:9]
	v_add_f64 v[8:9], v[36:37], -v[252:253]
	v_fmac_f64_e32 v[182:183], v[50:51], v[66:67]
	v_fmac_f64_e32 v[174:175], v[34:35], v[58:59]
	v_add_f64 v[48:49], v[8:9], -v[4:5]
	v_fmac_f64_e32 v[178:179], v[42:43], v[62:63]
	v_mul_f64 v[52:53], v[48:49], s[24:25]
	v_accvgpr_write_b32 a73, v61
	v_accvgpr_write_b32 a52, v54
	v_accvgpr_write_b32 a77, v65
	v_accvgpr_write_b32 a72, v60
	v_accvgpr_write_b32 a71, v59
	v_accvgpr_write_b32 a70, v58
	v_accvgpr_write_b32 a53, v55
	v_accvgpr_write_b32 a54, v56
	v_accvgpr_write_b32 a55, v57
	v_accvgpr_write_b32 a81, v69
	v_accvgpr_write_b32 a76, v64
	v_accvgpr_write_b32 a75, v63
	v_accvgpr_write_b32 a74, v62
	v_add_f64 v[56:57], v[236:237], -v[224:225]
	v_add_f64 v[58:59], v[238:239], -v[226:227]
	v_accvgpr_write_b32 a80, v68
	v_accvgpr_write_b32 a79, v67
	;; [unrolled: 1-line block ×3, first 2 shown]
	s_waitcnt lgkmcnt(0)
	; wave barrier
	s_waitcnt vmcnt(1) lgkmcnt(0)
	v_mul_f64 v[194:195], v[20:21], v[32:33]
	s_waitcnt vmcnt(0)
	v_mul_f64 v[28:29], v[26:27], v[40:41]
	v_fma_f64 v[188:189], v[24:25], v[38:39], -v[28:29]
	v_mul_f64 v[190:191], v[24:25], v[40:41]
	v_mul_f64 v[24:25], v[22:23], v[32:33]
	v_fma_f64 v[192:193], v[20:21], v[30:31], -v[24:25]
	v_add_f64 v[20:21], v[44:45], v[0:1]
	v_fmac_f64_e32 v[194:195], v[22:23], v[30:31]
	v_accvgpr_write_b32 a47, v33
	v_add_f64 v[22:23], v[2:3], v[14:15]
	v_add_f64 v[2:3], v[2:3], -v[14:15]
	v_add_f64 v[14:15], v[250:251], v[10:11]
	v_add_f64 v[24:25], v[252:253], v[36:37]
	;; [unrolled: 1-line block ×3, first 2 shown]
	v_fmac_f64_e32 v[190:191], v[26:27], v[38:39]
	v_accvgpr_write_b32 a46, v32
	v_accvgpr_write_b32 a45, v31
	;; [unrolled: 1-line block ×3, first 2 shown]
	v_add_f64 v[10:11], v[250:251], -v[10:11]
	v_add_f64 v[26:27], v[254:255], v[6:7]
	v_add_f64 v[6:7], v[6:7], -v[254:255]
	v_add_f64 v[30:31], v[14:15], v[22:23]
	v_add_f64 v[32:33], v[12:13], -v[20:21]
	v_add_f64 v[20:21], v[20:21], -v[24:25]
	;; [unrolled: 1-line block ×3, first 2 shown]
	v_add_f64 v[24:25], v[24:25], v[28:29]
	v_accvgpr_write_b32 a51, v41
	v_add_f64 v[34:35], v[14:15], -v[22:23]
	v_add_f64 v[22:23], v[22:23], -v[26:27]
	;; [unrolled: 1-line block ×4, first 2 shown]
	v_add_f64 v[26:27], v[26:27], v[30:31]
	v_add_f64 v[16:17], v[16:17], v[24:25]
	v_accvgpr_write_b32 a50, v40
	v_accvgpr_write_b32 a49, v39
	;; [unrolled: 1-line block ×3, first 2 shown]
	v_add_f64 v[0:1], v[44:45], -v[0:1]
	v_add_f64 v[40:41], v[8:9], v[4:5]
	v_add_f64 v[42:43], v[6:7], v[10:11]
	v_add_f64 v[10:11], v[10:11], -v[2:3]
	v_add_f64 v[18:19], v[18:19], v[26:27]
	v_mul_f64 v[48:49], v[50:51], s[24:25]
	v_pk_mov_b32 v[50:51], v[16:17], v[16:17] op_sel:[0,1]
	v_add_f64 v[8:9], v[0:1], -v[8:9]
	v_add_f64 v[6:7], v[2:3], -v[6:7]
	;; [unrolled: 1-line block ×3, first 2 shown]
	v_add_f64 v[0:1], v[40:41], v[0:1]
	v_mul_f64 v[20:21], v[20:21], s[22:23]
	v_mul_f64 v[22:23], v[22:23], s[22:23]
	v_mul_f64 v[28:29], v[12:13], s[4:5]
	v_mul_f64 v[30:31], v[14:15], s[4:5]
	v_mul_f64 v[40:41], v[10:11], s[6:7]
	v_fmac_f64_e32 v[50:51], s[20:21], v[24:25]
	v_pk_mov_b32 v[24:25], v[18:19], v[18:19] op_sel:[0,1]
	v_add_f64 v[2:3], v[42:43], v[2:3]
	v_mul_f64 v[42:43], v[4:5], s[6:7]
	v_fmac_f64_e32 v[24:25], s[20:21], v[26:27]
	v_fma_f64 v[26:27], v[32:33], s[8:9], -v[28:29]
	v_fma_f64 v[28:29], v[34:35], s[8:9], -v[30:31]
	;; [unrolled: 1-line block ×3, first 2 shown]
	v_fmac_f64_e32 v[20:21], s[4:5], v[12:13]
	v_fma_f64 v[12:13], v[34:35], s[16:17], -v[22:23]
	v_fmac_f64_e32 v[22:23], s[4:5], v[14:15]
	v_fma_f64 v[4:5], v[4:5], s[26:27], -v[52:53]
	v_fmac_f64_e32 v[52:53], s[14:15], v[8:9]
	v_fmac_f64_e32 v[40:41], s[18:19], v[6:7]
	v_fma_f64 v[10:11], v[10:11], s[26:27], -v[48:49]
	v_fmac_f64_e32 v[48:49], s[14:15], v[6:7]
	v_fmac_f64_e32 v[42:43], s[18:19], v[8:9]
	v_add_f64 v[6:7], v[20:21], v[50:51]
	v_add_f64 v[8:9], v[22:23], v[24:25]
	;; [unrolled: 1-line block ×4, first 2 shown]
	v_fmac_f64_e32 v[52:53], s[2:3], v[0:1]
	v_fmac_f64_e32 v[40:41], s[2:3], v[2:3]
	;; [unrolled: 1-line block ×5, first 2 shown]
	v_add_f64 v[34:35], v[8:9], -v[52:53]
	v_add_f64 v[20:21], v[40:41], v[50:51]
	v_add_f64 v[40:41], v[50:51], -v[40:41]
	v_add_f64 v[50:51], v[52:53], v[8:9]
	v_add_f64 v[0:1], v[228:229], v[244:245]
	;; [unrolled: 1-line block ×5, first 2 shown]
	v_fmac_f64_e32 v[48:49], s[2:3], v[2:3]
	v_add_f64 v[24:25], v[14:15], -v[10:11]
	v_add_f64 v[28:29], v[10:11], v[14:15]
	v_add_f64 v[2:3], v[230:231], v[246:247]
	;; [unrolled: 1-line block ×5, first 2 shown]
	v_accvgpr_read_b32 v36, a38
	v_add_f64 v[22:23], v[12:13], -v[42:43]
	v_add_f64 v[26:27], v[4:5], v[54:55]
	v_add_f64 v[30:31], v[54:55], -v[4:5]
	v_add_f64 v[42:43], v[42:43], v[12:13]
	v_add_f64 v[12:13], v[232:233], -v[240:241]
	v_add_f64 v[14:15], v[234:235], -v[242:243]
	v_add_f64 v[54:55], v[226:227], v[238:239]
	v_add_f64 v[62:63], v[10:11], v[2:3]
	v_add_f64 v[64:65], v[8:9], -v[0:1]
	v_add_f64 v[0:1], v[0:1], -v[52:53]
	;; [unrolled: 1-line block ×3, first 2 shown]
	v_add_f64 v[52:53], v[52:53], v[60:61]
	v_accvgpr_read_b32 v37, a39
	v_add_f64 v[4:5], v[228:229], -v[244:245]
	v_add_f64 v[66:67], v[10:11], -v[2:3]
	v_add_f64 v[2:3], v[2:3], -v[54:55]
	v_add_f64 v[10:11], v[54:55], -v[10:11]
	v_add_f64 v[72:73], v[56:57], -v[12:13]
	v_add_f64 v[74:75], v[58:59], -v[14:15]
	v_add_f64 v[54:55], v[54:55], v[62:63]
	v_accvgpr_read_b32 v38, a40
	v_accvgpr_read_b32 v39, a41
	v_add_f64 v[44:45], v[36:37], v[52:53]
	v_add_f64 v[32:33], v[48:49], v[6:7]
	v_add_f64 v[48:49], v[6:7], -v[48:49]
	v_add_f64 v[6:7], v[230:231], -v[246:247]
	v_add_f64 v[68:69], v[56:57], v[12:13]
	v_add_f64 v[70:71], v[58:59], v[14:15]
	v_add_f64 v[12:13], v[12:13], -v[4:5]
	v_add_f64 v[46:47], v[38:39], v[54:55]
	v_mul_f64 v[76:77], v[72:73], s[24:25]
	v_mul_f64 v[72:73], v[74:75], s[24:25]
	v_pk_mov_b32 v[74:75], v[44:45], v[44:45] op_sel:[0,1]
	v_add_f64 v[56:57], v[4:5], -v[56:57]
	v_add_f64 v[58:59], v[6:7], -v[58:59]
	;; [unrolled: 1-line block ×3, first 2 shown]
	v_add_f64 v[6:7], v[70:71], v[6:7]
	v_mul_f64 v[0:1], v[0:1], s[22:23]
	v_mul_f64 v[2:3], v[2:3], s[22:23]
	;; [unrolled: 1-line block ×5, first 2 shown]
	v_fmac_f64_e32 v[74:75], s[20:21], v[52:53]
	v_pk_mov_b32 v[52:53], v[46:47], v[46:47] op_sel:[0,1]
	v_add_f64 v[4:5], v[68:69], v[4:5]
	v_mul_f64 v[68:69], v[14:15], s[6:7]
	v_fmac_f64_e32 v[52:53], s[20:21], v[54:55]
	v_fma_f64 v[54:55], v[64:65], s[8:9], -v[60:61]
	v_fma_f64 v[60:61], v[66:67], s[8:9], -v[62:63]
	;; [unrolled: 1-line block ×3, first 2 shown]
	v_fmac_f64_e32 v[0:1], s[4:5], v[8:9]
	v_fma_f64 v[8:9], v[66:67], s[16:17], -v[2:3]
	v_fmac_f64_e32 v[2:3], s[4:5], v[10:11]
	v_fma_f64 v[10:11], v[12:13], s[26:27], -v[76:77]
	v_fma_f64 v[12:13], v[14:15], s[26:27], -v[72:73]
	v_fmac_f64_e32 v[72:73], s[14:15], v[58:59]
	v_fmac_f64_e32 v[70:71], s[18:19], v[56:57]
	;; [unrolled: 1-line block ×4, first 2 shown]
	v_add_f64 v[0:1], v[0:1], v[74:75]
	v_add_f64 v[8:9], v[8:9], v[52:53]
	v_fmac_f64_e32 v[72:73], s[2:3], v[6:7]
	v_fmac_f64_e32 v[70:71], s[2:3], v[4:5]
	v_add_f64 v[2:3], v[2:3], v[52:53]
	v_add_f64 v[14:15], v[54:55], v[74:75]
	;; [unrolled: 1-line block ×4, first 2 shown]
	v_fmac_f64_e32 v[76:77], s[2:3], v[4:5]
	v_fmac_f64_e32 v[10:11], s[2:3], v[4:5]
	;; [unrolled: 1-line block ×3, first 2 shown]
	v_add_f64 v[56:57], v[72:73], v[0:1]
	v_add_f64 v[54:55], v[8:9], -v[70:71]
	v_add_f64 v[70:71], v[70:71], v[8:9]
	v_add_f64 v[72:73], v[0:1], -v[72:73]
	v_add_f64 v[0:1], v[208:209], v[220:221]
	v_add_f64 v[8:9], v[200:201], v[216:217]
	v_fmac_f64_e32 v[12:13], s[2:3], v[6:7]
	v_add_f64 v[58:59], v[2:3], -v[76:77]
	v_add_f64 v[52:53], v[68:69], v[74:75]
	v_add_f64 v[62:63], v[10:11], v[66:67]
	v_add_f64 v[66:67], v[66:67], -v[10:11]
	v_add_f64 v[68:69], v[74:75], -v[68:69]
	v_add_f64 v[74:75], v[76:77], v[2:3]
	v_add_f64 v[2:3], v[210:211], v[222:223]
	;; [unrolled: 1-line block ×5, first 2 shown]
	v_accvgpr_read_b32 v36, a66
	v_add_f64 v[60:61], v[14:15], -v[12:13]
	v_add_f64 v[64:65], v[12:13], v[14:15]
	v_add_f64 v[12:13], v[200:201], -v[216:217]
	v_add_f64 v[14:15], v[202:203], -v[218:219]
	v_add_f64 v[86:87], v[10:11], v[2:3]
	v_add_f64 v[88:89], v[8:9], -v[0:1]
	v_add_f64 v[0:1], v[0:1], -v[76:77]
	;; [unrolled: 1-line block ×3, first 2 shown]
	v_add_f64 v[76:77], v[76:77], v[84:85]
	v_accvgpr_read_b32 v37, a67
	v_add_f64 v[4:5], v[208:209], -v[220:221]
	v_add_f64 v[90:91], v[10:11], -v[2:3]
	;; [unrolled: 1-line block ×6, first 2 shown]
	v_add_f64 v[78:79], v[78:79], v[86:87]
	v_accvgpr_read_b32 v38, a68
	v_accvgpr_read_b32 v39, a69
	v_add_f64 v[36:37], v[36:37], v[76:77]
	v_add_f64 v[6:7], v[210:211], -v[222:223]
	v_add_f64 v[92:93], v[80:81], v[12:13]
	v_add_f64 v[94:95], v[82:83], v[14:15]
	v_add_f64 v[12:13], v[12:13], -v[4:5]
	v_add_f64 v[38:39], v[38:39], v[78:79]
	v_mul_f64 v[102:103], v[96:97], s[24:25]
	v_mul_f64 v[96:97], v[98:99], s[24:25]
	v_pk_mov_b32 v[98:99], v[36:37], v[36:37] op_sel:[0,1]
	v_add_f64 v[80:81], v[4:5], -v[80:81]
	v_add_f64 v[82:83], v[6:7], -v[82:83]
	;; [unrolled: 1-line block ×3, first 2 shown]
	v_add_f64 v[6:7], v[94:95], v[6:7]
	v_mul_f64 v[0:1], v[0:1], s[22:23]
	v_mul_f64 v[2:3], v[2:3], s[22:23]
	;; [unrolled: 1-line block ×5, first 2 shown]
	v_fmac_f64_e32 v[98:99], s[20:21], v[76:77]
	v_pk_mov_b32 v[76:77], v[38:39], v[38:39] op_sel:[0,1]
	v_add_f64 v[4:5], v[92:93], v[4:5]
	v_mul_f64 v[92:93], v[14:15], s[6:7]
	v_fmac_f64_e32 v[76:77], s[20:21], v[78:79]
	v_fma_f64 v[78:79], v[88:89], s[8:9], -v[84:85]
	v_fma_f64 v[84:85], v[90:91], s[8:9], -v[86:87]
	;; [unrolled: 1-line block ×3, first 2 shown]
	v_fmac_f64_e32 v[0:1], s[4:5], v[8:9]
	v_fma_f64 v[8:9], v[90:91], s[16:17], -v[2:3]
	v_fmac_f64_e32 v[2:3], s[4:5], v[10:11]
	v_fma_f64 v[10:11], v[12:13], s[26:27], -v[102:103]
	v_fma_f64 v[12:13], v[14:15], s[26:27], -v[96:97]
	v_fmac_f64_e32 v[96:97], s[14:15], v[82:83]
	v_fmac_f64_e32 v[94:95], s[18:19], v[80:81]
	;; [unrolled: 1-line block ×4, first 2 shown]
	v_add_f64 v[0:1], v[0:1], v[98:99]
	v_add_f64 v[14:15], v[78:79], v[98:99]
	;; [unrolled: 1-line block ×4, first 2 shown]
	v_fmac_f64_e32 v[96:97], s[2:3], v[6:7]
	v_fmac_f64_e32 v[10:11], s[2:3], v[4:5]
	;; [unrolled: 1-line block ×4, first 2 shown]
	v_add_f64 v[2:3], v[2:3], v[76:77]
	v_add_f64 v[98:99], v[86:87], v[98:99]
	v_fmac_f64_e32 v[102:103], s[2:3], v[4:5]
	v_fmac_f64_e32 v[92:93], s[2:3], v[6:7]
	v_add_f64 v[80:81], v[96:97], v[0:1]
	v_add_f64 v[78:79], v[8:9], -v[94:95]
	v_add_f64 v[84:85], v[14:15], -v[12:13]
	v_add_f64 v[86:87], v[10:11], v[90:91]
	v_add_f64 v[88:89], v[12:13], v[14:15]
	v_add_f64 v[90:91], v[90:91], -v[10:11]
	v_add_f64 v[94:95], v[94:95], v[8:9]
	v_add_f64 v[96:97], v[0:1], -v[96:97]
	;; [unrolled: 2-line block ×3, first 2 shown]
	v_add_f64 v[6:7], v[120:121], -v[100:101]
	v_add_f64 v[8:9], v[122:123], v[110:111]
	v_add_f64 v[10:11], v[198:199], v[104:105]
	v_add_f64 v[12:13], v[122:123], -v[110:111]
	v_add_f64 v[14:15], v[198:199], -v[104:105]
	;; [unrolled: 1-line block ×5, first 2 shown]
	v_add_f64 v[76:77], v[92:93], v[98:99]
	v_add_f64 v[92:93], v[98:99], -v[92:93]
	v_add_f64 v[98:99], v[102:103], v[2:3]
	v_add_f64 v[2:3], v[120:121], v[100:101]
	;; [unrolled: 1-line block ×7, first 2 shown]
	v_add_f64 v[120:121], v[104:105], -v[12:13]
	v_add_f64 v[122:123], v[106:107], -v[14:15]
	;; [unrolled: 1-line block ×4, first 2 shown]
	v_accvgpr_read_b32 v12, a58
	v_add_f64 v[110:111], v[10:11], v[2:3]
	v_add_f64 v[112:113], v[8:9], -v[0:1]
	v_add_f64 v[0:1], v[0:1], -v[100:101]
	v_add_f64 v[8:9], v[100:101], -v[8:9]
	v_add_f64 v[100:101], v[100:101], v[108:109]
	v_accvgpr_read_b32 v13, a59
	v_add_f64 v[114:115], v[10:11], -v[2:3]
	v_add_f64 v[2:3], v[2:3], -v[102:103]
	v_add_f64 v[10:11], v[102:103], -v[10:11]
	v_add_f64 v[102:103], v[102:103], v[110:111]
	v_accvgpr_read_b32 v14, a60
	v_accvgpr_read_b32 v15, a61
	v_add_f64 v[12:13], v[12:13], v[100:101]
	v_add_f64 v[14:15], v[14:15], v[102:103]
	v_mul_f64 v[200:201], v[120:121], s[24:25]
	v_mul_f64 v[120:121], v[122:123], s[24:25]
	v_pk_mov_b32 v[122:123], v[12:13], v[12:13] op_sel:[0,1]
	v_add_f64 v[104:105], v[4:5], -v[104:105]
	v_add_f64 v[106:107], v[6:7], -v[106:107]
	v_add_f64 v[4:5], v[116:117], v[4:5]
	v_add_f64 v[6:7], v[118:119], v[6:7]
	v_mul_f64 v[0:1], v[0:1], s[22:23]
	v_mul_f64 v[2:3], v[2:3], s[22:23]
	;; [unrolled: 1-line block ×6, first 2 shown]
	v_fmac_f64_e32 v[122:123], s[20:21], v[100:101]
	v_pk_mov_b32 v[100:101], v[14:15], v[14:15] op_sel:[0,1]
	v_fmac_f64_e32 v[100:101], s[20:21], v[102:103]
	v_fma_f64 v[102:103], v[112:113], s[8:9], -v[108:109]
	v_fma_f64 v[108:109], v[114:115], s[8:9], -v[110:111]
	;; [unrolled: 1-line block ×3, first 2 shown]
	v_fmac_f64_e32 v[0:1], s[4:5], v[8:9]
	v_fma_f64 v[8:9], v[114:115], s[16:17], -v[2:3]
	v_fmac_f64_e32 v[2:3], s[4:5], v[10:11]
	v_fma_f64 v[10:11], v[124:125], s[26:27], -v[200:201]
	;; [unrolled: 2-line block ×3, first 2 shown]
	v_fmac_f64_e32 v[120:121], s[14:15], v[106:107]
	v_fmac_f64_e32 v[118:119], s[18:19], v[104:105]
	;; [unrolled: 1-line block ×3, first 2 shown]
	v_add_f64 v[0:1], v[0:1], v[122:123]
	v_add_f64 v[2:3], v[2:3], v[100:101]
	;; [unrolled: 1-line block ×6, first 2 shown]
	v_fmac_f64_e32 v[200:201], s[2:3], v[4:5]
	v_fmac_f64_e32 v[120:121], s[2:3], v[6:7]
	v_fmac_f64_e32 v[10:11], s[2:3], v[4:5]
	v_fmac_f64_e32 v[112:113], s[2:3], v[6:7]
	v_fmac_f64_e32 v[118:119], s[2:3], v[4:5]
	v_fmac_f64_e32 v[116:117], s[2:3], v[6:7]
	v_add_f64 v[104:105], v[120:121], v[0:1]
	v_add_f64 v[106:107], v[2:3], -v[200:201]
	v_add_f64 v[100:101], v[116:117], v[122:123]
	v_add_f64 v[102:103], v[8:9], -v[118:119]
	v_add_f64 v[108:109], v[114:115], -v[112:113]
	v_add_f64 v[110:111], v[10:11], v[124:125]
	v_add_f64 v[112:113], v[112:113], v[114:115]
	v_add_f64 v[114:115], v[124:125], -v[10:11]
	v_add_f64 v[116:117], v[122:123], -v[116:117]
	v_add_f64 v[118:119], v[118:119], v[8:9]
	v_add_f64 v[120:121], v[0:1], -v[120:121]
	v_add_f64 v[122:123], v[200:201], v[2:3]
	v_add_f64 v[0:1], v[132:133], v[144:145]
	;; [unrolled: 1-line block ×3, first 2 shown]
	v_add_f64 v[4:5], v[132:133], -v[144:145]
	v_add_f64 v[6:7], v[134:135], -v[146:147]
	v_add_f64 v[8:9], v[148:149], v[140:141]
	v_add_f64 v[10:11], v[126:127], v[142:143]
	v_add_f64 v[124:125], v[148:149], -v[140:141]
	v_add_f64 v[126:127], v[126:127], -v[142:143]
	v_add_f64 v[132:133], v[128:129], v[136:137]
	v_add_f64 v[134:135], v[130:131], v[138:139]
	;; [unrolled: 4-line block ×3, first 2 shown]
	v_add_f64 v[140:141], v[8:9], -v[0:1]
	v_add_f64 v[142:143], v[10:11], -v[2:3]
	;; [unrolled: 1-line block ×4, first 2 shown]
	v_add_f64 v[8:9], v[128:129], v[124:125]
	v_add_f64 v[10:11], v[130:131], v[126:127]
	v_add_f64 v[148:149], v[128:129], -v[124:125]
	v_add_f64 v[198:199], v[130:131], -v[126:127]
	;; [unrolled: 1-line block ×6, first 2 shown]
	v_add_f64 v[4:5], v[8:9], v[4:5]
	v_add_f64 v[6:7], v[10:11], v[6:7]
	v_accvgpr_read_b32 v8, a28
	v_add_f64 v[0:1], v[0:1], -v[132:133]
	v_add_f64 v[132:133], v[132:133], v[136:137]
	v_accvgpr_read_b32 v9, a29
	v_add_f64 v[2:3], v[2:3], -v[134:135]
	v_add_f64 v[134:135], v[134:135], v[138:139]
	v_accvgpr_read_b32 v10, a30
	v_accvgpr_read_b32 v11, a31
	v_add_f64 v[8:9], v[8:9], v[132:133]
	v_add_f64 v[10:11], v[10:11], v[134:135]
	v_pk_mov_b32 v[204:205], v[8:9], v[8:9] op_sel:[0,1]
	v_mul_f64 v[0:1], v[0:1], s[22:23]
	v_mul_f64 v[2:3], v[2:3], s[22:23]
	;; [unrolled: 1-line block ×6, first 2 shown]
	v_fmac_f64_e32 v[204:205], s[20:21], v[132:133]
	v_pk_mov_b32 v[132:133], v[10:11], v[10:11] op_sel:[0,1]
	v_mul_f64 v[200:201], v[124:125], s[6:7]
	v_mul_f64 v[202:203], v[126:127], s[6:7]
	v_fmac_f64_e32 v[132:133], s[20:21], v[134:135]
	v_fma_f64 v[134:135], v[140:141], s[8:9], -v[136:137]
	v_fma_f64 v[136:137], v[142:143], s[8:9], -v[138:139]
	;; [unrolled: 1-line block ×3, first 2 shown]
	v_fmac_f64_e32 v[0:1], s[4:5], v[144:145]
	v_fma_f64 v[140:141], v[142:143], s[16:17], -v[2:3]
	v_fmac_f64_e32 v[2:3], s[4:5], v[146:147]
	v_fma_f64 v[142:143], v[124:125], s[26:27], -v[148:149]
	;; [unrolled: 2-line block ×3, first 2 shown]
	v_fmac_f64_e32 v[198:199], s[14:15], v[130:131]
	v_fmac_f64_e32 v[200:201], s[18:19], v[128:129]
	;; [unrolled: 1-line block ×3, first 2 shown]
	v_add_f64 v[0:1], v[0:1], v[204:205]
	v_add_f64 v[2:3], v[2:3], v[132:133]
	;; [unrolled: 1-line block ×3, first 2 shown]
	v_fmac_f64_e32 v[148:149], s[2:3], v[4:5]
	v_fmac_f64_e32 v[198:199], s[2:3], v[6:7]
	;; [unrolled: 1-line block ×3, first 2 shown]
	v_add_f64 v[206:207], v[136:137], v[132:133]
	v_add_f64 v[208:209], v[140:141], v[132:133]
	v_fmac_f64_e32 v[142:143], s[2:3], v[4:5]
	v_fmac_f64_e32 v[200:201], s[2:3], v[4:5]
	;; [unrolled: 1-line block ×3, first 2 shown]
	v_add_f64 v[128:129], v[198:199], v[0:1]
	v_add_f64 v[130:131], v[2:3], -v[148:149]
	v_add_f64 v[132:133], v[146:147], -v[144:145]
	v_add_f64 v[136:137], v[144:145], v[146:147]
	v_add_f64 v[144:145], v[0:1], -v[198:199]
	v_add_f64 v[146:147], v[148:149], v[2:3]
	v_add_f64 v[0:1], v[152:153], v[168:169]
	;; [unrolled: 1-line block ×3, first 2 shown]
	v_add_f64 v[4:5], v[152:153], -v[168:169]
	v_add_f64 v[6:7], v[154:155], -v[170:171]
	v_add_f64 v[148:149], v[156:157], v[164:165]
	v_add_f64 v[152:153], v[158:159], v[166:167]
	v_add_f64 v[154:155], v[156:157], -v[164:165]
	v_add_f64 v[156:157], v[158:159], -v[166:167]
	v_add_f64 v[158:159], v[172:173], v[160:161]
	v_add_f64 v[164:165], v[150:151], v[162:163]
	;; [unrolled: 4-line block ×3, first 2 shown]
	v_add_f64 v[166:167], v[152:153], v[2:3]
	v_add_f64 v[172:173], v[160:161], v[154:155]
	v_add_f64 v[198:199], v[150:151], v[156:157]
	v_add_f64 v[124:125], v[202:203], v[204:205]
	v_add_f64 v[126:127], v[208:209], -v[200:201]
	v_add_f64 v[134:135], v[142:143], v[206:207]
	v_add_f64 v[138:139], v[206:207], -v[142:143]
	v_add_f64 v[140:141], v[204:205], -v[202:203]
	v_add_f64 v[142:143], v[200:201], v[208:209]
	v_add_f64 v[168:169], v[148:149], -v[0:1]
	v_add_f64 v[170:171], v[152:153], -v[2:3]
	;; [unrolled: 1-line block ×12, first 2 shown]
	v_add_f64 v[158:159], v[158:159], v[162:163]
	v_add_f64 v[162:163], v[164:165], v[166:167]
	;; [unrolled: 1-line block ×4, first 2 shown]
	v_accvgpr_read_b32 v4, a16
	v_accvgpr_read_b32 v5, a17
	v_accvgpr_read_b32 v6, a18
	v_accvgpr_read_b32 v7, a19
	v_add_f64 v[4:5], v[4:5], v[158:159]
	v_add_f64 v[6:7], v[6:7], v[162:163]
	v_pk_mov_b32 v[208:209], v[4:5], v[4:5] op_sel:[0,1]
	v_mul_f64 v[0:1], v[0:1], s[22:23]
	v_mul_f64 v[2:3], v[2:3], s[22:23]
	;; [unrolled: 1-line block ×8, first 2 shown]
	v_fmac_f64_e32 v[208:209], s[20:21], v[158:159]
	v_pk_mov_b32 v[158:159], v[6:7], v[6:7] op_sel:[0,1]
	v_fmac_f64_e32 v[158:159], s[20:21], v[162:163]
	v_fma_f64 v[162:163], v[168:169], s[8:9], -v[172:173]
	v_fma_f64 v[172:173], v[170:171], s[8:9], -v[198:199]
	;; [unrolled: 1-line block ×3, first 2 shown]
	v_fmac_f64_e32 v[0:1], s[4:5], v[148:149]
	v_fma_f64 v[148:149], v[170:171], s[16:17], -v[2:3]
	v_fmac_f64_e32 v[2:3], s[4:5], v[152:153]
	v_fma_f64 v[170:171], v[154:155], s[26:27], -v[200:201]
	;; [unrolled: 2-line block ×3, first 2 shown]
	v_fmac_f64_e32 v[202:203], s[14:15], v[150:151]
	v_fmac_f64_e32 v[204:205], s[18:19], v[160:161]
	;; [unrolled: 1-line block ×3, first 2 shown]
	v_add_f64 v[0:1], v[0:1], v[208:209]
	v_add_f64 v[2:3], v[2:3], v[158:159]
	;; [unrolled: 1-line block ×6, first 2 shown]
	v_fmac_f64_e32 v[200:201], s[2:3], v[164:165]
	v_fmac_f64_e32 v[202:203], s[2:3], v[166:167]
	;; [unrolled: 1-line block ×6, first 2 shown]
	v_add_f64 v[152:153], v[202:203], v[0:1]
	v_add_f64 v[154:155], v[2:3], -v[200:201]
	v_add_f64 v[148:149], v[206:207], v[168:169]
	v_add_f64 v[150:151], v[172:173], -v[204:205]
	;; [unrolled: 2-line block ×3, first 2 shown]
	v_add_f64 v[164:165], v[168:169], -v[206:207]
	v_add_f64 v[166:167], v[204:205], v[172:173]
	v_add_f64 v[168:169], v[0:1], -v[202:203]
	v_add_f64 v[170:171], v[200:201], v[2:3]
	v_add_f64 v[0:1], v[180:181], v[192:193]
	;; [unrolled: 1-line block ×3, first 2 shown]
	v_add_f64 v[172:173], v[180:181], -v[192:193]
	v_add_f64 v[180:181], v[182:183], -v[194:195]
	v_accvgpr_read_b32 v195, a37
	v_accvgpr_read_b32 v194, a36
	v_add_f64 v[182:183], v[176:177], v[188:189]
	v_add_f64 v[192:193], v[178:179], v[190:191]
	v_add_f64 v[176:177], v[176:177], -v[188:189]
	v_add_f64 v[178:179], v[178:179], -v[190:191]
	v_add_f64 v[188:189], v[194:195], v[184:185]
	v_add_f64 v[190:191], v[174:175], v[186:187]
	v_add_f64 v[184:185], v[184:185], -v[194:195]
	v_add_f64 v[174:175], v[186:187], -v[174:175]
	;; [unrolled: 1-line block ×3, first 2 shown]
	v_add_f64 v[160:161], v[198:199], v[160:161]
	v_add_f64 v[186:187], v[182:183], v[0:1]
	;; [unrolled: 1-line block ×3, first 2 shown]
	v_add_f64 v[198:199], v[182:183], -v[0:1]
	v_add_f64 v[200:201], v[192:193], -v[2:3]
	;; [unrolled: 1-line block ×4, first 2 shown]
	v_add_f64 v[0:1], v[184:185], v[176:177]
	v_add_f64 v[2:3], v[174:175], v[178:179]
	v_add_f64 v[206:207], v[184:185], -v[176:177]
	v_add_f64 v[208:209], v[174:175], -v[178:179]
	;; [unrolled: 1-line block ×6, first 2 shown]
	v_add_f64 v[172:173], v[0:1], v[172:173]
	v_add_f64 v[180:181], v[2:3], v[180:181]
	v_accvgpr_read_b32 v0, a0
	v_add_f64 v[186:187], v[188:189], v[186:187]
	v_accvgpr_read_b32 v1, a1
	v_add_f64 v[182:183], v[188:189], -v[182:183]
	v_add_f64 v[188:189], v[190:191], v[194:195]
	v_accvgpr_read_b32 v2, a2
	v_accvgpr_read_b32 v3, a3
	v_add_f64 v[0:1], v[0:1], v[186:187]
	v_add_f64 v[192:193], v[190:191], -v[192:193]
	v_add_f64 v[2:3], v[2:3], v[188:189]
	v_pk_mov_b32 v[214:215], v[0:1], v[0:1] op_sel:[0,1]
	v_mul_f64 v[190:191], v[202:203], s[22:23]
	v_mul_f64 v[194:195], v[204:205], s[22:23]
	;; [unrolled: 1-line block ×7, first 2 shown]
	v_fmac_f64_e32 v[214:215], s[20:21], v[186:187]
	v_pk_mov_b32 v[186:187], v[2:3], v[2:3] op_sel:[0,1]
	v_fmac_f64_e32 v[186:187], s[20:21], v[188:189]
	v_fma_f64 v[188:189], v[198:199], s[8:9], -v[202:203]
	v_fma_f64 v[202:203], v[200:201], s[8:9], -v[204:205]
	;; [unrolled: 1-line block ×3, first 2 shown]
	v_fmac_f64_e32 v[190:191], s[4:5], v[182:183]
	v_fma_f64 v[182:183], v[200:201], s[16:17], -v[194:195]
	v_fmac_f64_e32 v[194:195], s[4:5], v[192:193]
	v_fma_f64 v[192:193], v[176:177], s[26:27], -v[206:207]
	v_fmac_f64_e32 v[210:211], s[18:19], v[184:185]
	v_fmac_f64_e32 v[212:213], s[18:19], v[174:175]
	v_mul_f64 v[208:209], v[208:209], s[24:25]
	v_fmac_f64_e32 v[206:207], s[14:15], v[184:185]
	v_add_f64 v[204:205], v[190:191], v[214:215]
	v_add_f64 v[184:185], v[188:189], v[214:215]
	;; [unrolled: 1-line block ×5, first 2 shown]
	v_fmac_f64_e32 v[192:193], s[2:3], v[172:173]
	v_fmac_f64_e32 v[210:211], s[2:3], v[172:173]
	;; [unrolled: 1-line block ×3, first 2 shown]
	v_fma_f64 v[200:201], v[178:179], s[26:27], -v[208:209]
	v_fmac_f64_e32 v[208:209], s[14:15], v[174:175]
	v_add_f64 v[194:195], v[194:195], v[186:187]
	v_fmac_f64_e32 v[206:207], s[2:3], v[172:173]
	v_add_f64 v[172:173], v[212:213], v[190:191]
	v_add_f64 v[174:175], v[198:199], -v[210:211]
	v_add_f64 v[182:183], v[192:193], v[188:189]
	v_add_f64 v[186:187], v[188:189], -v[192:193]
	v_add_f64 v[188:189], v[190:191], -v[212:213]
	v_add_f64 v[190:191], v[210:211], v[198:199]
	v_accvgpr_read_b32 v198, a12
	v_mul_u32_u24_e32 v198, 49, v198
	v_accvgpr_read_b32 v199, a13
	v_add_lshl_u32 v198, v198, v199, 4
	ds_write_b128 v198, v[16:19]
	ds_write_b128 v198, v[32:35] offset:112
	ds_write_b128 v198, v[20:23] offset:224
	ds_write_b128 v198, v[24:27] offset:336
	ds_write_b128 v198, v[28:31] offset:448
	ds_write_b128 v198, v[40:43] offset:560
	ds_write_b128 v198, v[48:51] offset:672
	v_accvgpr_read_b32 v16, a14
	v_mul_u32_u24_e32 v16, 49, v16
	v_accvgpr_read_b32 v17, a15
	v_add_lshl_u32 v16, v16, v17, 4
	buffer_store_dword v16, off, s[40:43], 0 offset:1764 ; 4-byte Folded Spill
	ds_write_b128 v16, v[44:47]
	ds_write_b128 v16, v[56:59] offset:112
	ds_write_b128 v16, v[52:55] offset:224
	ds_write_b128 v16, v[60:63] offset:336
	ds_write_b128 v16, v[64:67] offset:448
	ds_write_b128 v16, v[68:71] offset:560
	ds_write_b128 v16, v[72:75] offset:672
	v_accvgpr_read_b32 v16, a20
	v_mul_u32_u24_e32 v16, 49, v16
	v_accvgpr_read_b32 v17, a21
	v_add_lshl_u32 v16, v16, v17, 4
	buffer_store_dword v16, off, s[40:43], 0 offset:1756 ; 4-byte Folded Spill
	;; [unrolled: 12-line block ×4, first 2 shown]
	ds_write_b128 v12, v[8:11]
	ds_write_b128 v12, v[128:131] offset:112
	ds_write_b128 v12, v[124:127] offset:224
	;; [unrolled: 1-line block ×6, first 2 shown]
	v_accvgpr_read_b32 v8, a26
	v_accvgpr_read_b32 v9, a27
	v_mad_legacy_u16 v8, v8, 49, v9
	v_lshlrev_b32_e32 v8, 4, v8
	buffer_store_dword v8, off, s[40:43], 0 offset:876 ; 4-byte Folded Spill
	ds_write_b128 v8, v[4:7]
	ds_write_b128 v8, v[152:155] offset:112
	ds_write_b128 v8, v[148:151] offset:224
	ds_write_b128 v8, v[156:159] offset:336
	ds_write_b128 v8, v[160:163] offset:448
	ds_write_b128 v8, v[164:167] offset:560
	ds_write_b128 v8, v[168:171] offset:672
	v_accvgpr_read_b32 v4, a56
	v_accvgpr_read_b32 v5, a57
	v_fmac_f64_e32 v[208:209], s[2:3], v[180:181]
	v_fmac_f64_e32 v[200:201], s[2:3], v[180:181]
	v_mad_legacy_u16 v4, v4, 49, v5
	v_add_f64 v[176:177], v[208:209], v[204:205]
	v_add_f64 v[178:179], v[194:195], -v[206:207]
	v_add_f64 v[180:181], v[184:185], -v[200:201]
	v_add_f64 v[184:185], v[200:201], v[184:185]
	v_add_f64 v[192:193], v[204:205], -v[208:209]
	v_add_f64 v[194:195], v[206:207], v[194:195]
	v_lshlrev_b32_e32 v4, 4, v4
	buffer_store_dword v4, off, s[40:43], 0 offset:776 ; 4-byte Folded Spill
	ds_write_b128 v4, v[0:3]
	ds_write_b128 v4, v[176:179] offset:112
	ds_write_b128 v4, v[172:175] offset:224
	;; [unrolled: 1-line block ×6, first 2 shown]
	s_waitcnt lgkmcnt(0)
	; wave barrier
	s_waitcnt lgkmcnt(0)
	ds_read_b128 v[212:215], v196
	ds_read_b128 v[192:195], v196 offset:5488
	ds_read_b128 v[188:191], v196 offset:10976
	;; [unrolled: 1-line block ×48, first 2 shown]
	buffer_load_dword v0, off, s[40:43], 0  ; 4-byte Folded Reload
	v_pk_mov_b32 v[220:221], s[10:11], s[10:11] op_sel:[0,1]
	v_accvgpr_write_b32 a64, v198
	s_waitcnt vmcnt(0)
	v_mad_u64_u32 v[222:223], s[36:37], v0, s35, v[220:221]
	global_load_dwordx4 v[10:13], v[222:223], off offset:720
	global_load_dwordx4 v[198:201], v[222:223], off offset:704
	;; [unrolled: 1-line block ×4, first 2 shown]
	s_movk_i32 s36, 0x4f
	s_waitcnt vmcnt(3) lgkmcnt(14)
	v_mul_f64 v[4:5], v[180:181], v[12:13]
	s_waitcnt vmcnt(2)
	v_mul_f64 v[6:7], v[184:185], v[200:201]
	v_fmac_f64_e32 v[6:7], v[186:187], v[198:199]
	s_waitcnt vmcnt(0)
	v_mul_f64 v[0:1], v[194:195], v[208:209]
	v_fma_f64 v[18:19], v[192:193], v[206:207], -v[0:1]
	v_mul_f64 v[0:1], v[190:191], v[204:205]
	v_mul_f64 v[14:15], v[192:193], v[208:209]
	v_fma_f64 v[192:193], v[188:189], v[202:203], -v[0:1]
	v_mul_f64 v[0:1], v[186:187], v[200:201]
	v_fma_f64 v[48:49], v[184:185], v[198:199], -v[0:1]
	;; [unrolled: 2-line block ×3, first 2 shown]
	v_fmac_f64_e32 v[4:5], v[182:183], v[10:11]
	global_load_dwordx4 v[180:183], v[222:223], off offset:752
	global_load_dwordx4 v[184:187], v[222:223], off offset:736
	v_fmac_f64_e32 v[14:15], v[194:195], v[206:207]
	v_mul_f64 v[46:47], v[188:189], v[204:205]
	buffer_store_dword v206, off, s[40:43], 0 offset:1120 ; 4-byte Folded Spill
	s_nop 0
	buffer_store_dword v207, off, s[40:43], 0 offset:1124 ; 4-byte Folded Spill
	buffer_store_dword v208, off, s[40:43], 0 offset:1128 ; 4-byte Folded Spill
	;; [unrolled: 1-line block ×3, first 2 shown]
	v_fmac_f64_e32 v[46:47], v[190:191], v[202:203]
	buffer_store_dword v202, off, s[40:43], 0 offset:1136 ; 4-byte Folded Spill
	s_nop 0
	buffer_store_dword v203, off, s[40:43], 0 offset:1140 ; 4-byte Folded Spill
	buffer_store_dword v204, off, s[40:43], 0 offset:1144 ; 4-byte Folded Spill
	buffer_store_dword v205, off, s[40:43], 0 offset:1148 ; 4-byte Folded Spill
	buffer_store_dword v198, off, s[40:43], 0 offset:1152 ; 4-byte Folded Spill
	s_nop 0
	buffer_store_dword v199, off, s[40:43], 0 offset:1156 ; 4-byte Folded Spill
	buffer_store_dword v200, off, s[40:43], 0 offset:1160 ; 4-byte Folded Spill
	buffer_store_dword v201, off, s[40:43], 0 offset:1164 ; 4-byte Folded Spill
	;; [unrolled: 5-line block ×3, first 2 shown]
	s_waitcnt vmcnt(16)
	v_mul_f64 v[0:1], v[178:179], v[186:187]
	v_fma_f64 v[50:51], v[176:177], v[184:185], -v[0:1]
	v_mul_f64 v[0:1], v[174:175], v[182:183]
	v_mul_f64 v[2:3], v[176:177], v[186:187]
	v_fma_f64 v[16:17], v[172:173], v[180:181], -v[0:1]
	v_mul_f64 v[0:1], v[172:173], v[182:183]
	v_fmac_f64_e32 v[2:3], v[178:179], v[184:185]
	v_fmac_f64_e32 v[0:1], v[174:175], v[180:181]
	buffer_store_dword v184, off, s[40:43], 0 offset:1216 ; 4-byte Folded Spill
	s_nop 0
	buffer_store_dword v185, off, s[40:43], 0 offset:1220 ; 4-byte Folded Spill
	buffer_store_dword v186, off, s[40:43], 0 offset:1224 ; 4-byte Folded Spill
	;; [unrolled: 1-line block ×4, first 2 shown]
	s_nop 0
	buffer_store_dword v181, off, s[40:43], 0 offset:1252 ; 4-byte Folded Spill
	buffer_store_dword v182, off, s[40:43], 0 offset:1256 ; 4-byte Folded Spill
	;; [unrolled: 1-line block ×3, first 2 shown]
	v_mul_f64 v[8:9], v[170:171], v[208:209]
	v_fma_f64 v[252:253], v[168:169], v[206:207], -v[8:9]
	v_mul_f64 v[8:9], v[166:167], v[204:205]
	v_mul_f64 v[254:255], v[168:169], v[208:209]
	v_fma_f64 v[208:209], v[164:165], v[202:203], -v[8:9]
	v_mul_f64 v[8:9], v[162:163], v[200:201]
	;; [unrolled: 3-line block ×3, first 2 shown]
	v_mul_f64 v[12:13], v[156:157], v[12:13]
	v_fmac_f64_e32 v[254:255], v[170:171], v[206:207]
	v_mul_f64 v[206:207], v[160:161], v[200:201]
	v_fma_f64 v[160:161], v[156:157], v[10:11], -v[8:9]
	v_fmac_f64_e32 v[12:13], v[158:159], v[10:11]
	v_fmac_f64_e32 v[210:211], v[166:167], v[202:203]
	;; [unrolled: 1-line block ×3, first 2 shown]
	v_mul_f64 v[8:9], v[154:155], v[186:187]
	v_mul_f64 v[10:11], v[150:151], v[182:183]
	v_fma_f64 v[156:157], v[152:153], v[184:185], -v[8:9]
	v_mul_f64 v[8:9], v[152:153], v[186:187]
	v_fma_f64 v[152:153], v[148:149], v[180:181], -v[10:11]
	v_mul_f64 v[10:11], v[148:149], v[182:183]
	v_fmac_f64_e32 v[10:11], v[150:151], v[180:181]
	v_accvgpr_read_b32 v150, a6
	v_mul_lo_u16_sdwa v148, v150, s36 dst_sel:DWORD dst_unused:UNUSED_PAD src0_sel:BYTE_0 src1_sel:DWORD
	v_sub_u16_sdwa v149, v150, v148 dst_sel:DWORD dst_unused:UNUSED_PAD src0_sel:DWORD src1_sel:BYTE_1
	v_lshrrev_b16_e32 v149, 1, v149
	v_and_b32_e32 v149, 0x7f, v149
	v_add_u16_sdwa v148, v149, v148 dst_sel:DWORD dst_unused:UNUSED_PAD src0_sel:DWORD src1_sel:BYTE_1
	v_lshrrev_b16_e32 v148, 5, v148
	v_mul_lo_u16_e32 v148, 49, v148
	v_sub_u16_e32 v148, v150, v148
	v_and_b32_e32 v150, 0xff, v148
	v_mad_u64_u32 v[148:149], s[38:39], v150, s35, v[220:221]
	global_load_dwordx4 v[162:165], v[148:149], off offset:720
	global_load_dwordx4 v[166:169], v[148:149], off offset:704
	;; [unrolled: 1-line block ×4, first 2 shown]
	v_accvgpr_write_b32 a6, v150
	v_fmac_f64_e32 v[8:9], v[154:155], v[184:185]
	s_waitcnt vmcnt(0)
	v_mul_f64 v[150:151], v[146:147], v[176:177]
	v_fma_f64 v[232:233], v[144:145], v[174:175], -v[150:151]
	buffer_store_dword v174, off, s[40:43], 0 offset:812 ; 4-byte Folded Spill
	s_nop 0
	buffer_store_dword v175, off, s[40:43], 0 offset:816 ; 4-byte Folded Spill
	buffer_store_dword v176, off, s[40:43], 0 offset:820 ; 4-byte Folded Spill
	buffer_store_dword v177, off, s[40:43], 0 offset:824 ; 4-byte Folded Spill
	buffer_store_dword v170, off, s[40:43], 0 offset:828 ; 4-byte Folded Spill
	s_nop 0
	buffer_store_dword v171, off, s[40:43], 0 offset:832 ; 4-byte Folded Spill
	buffer_store_dword v172, off, s[40:43], 0 offset:836 ; 4-byte Folded Spill
	buffer_store_dword v173, off, s[40:43], 0 offset:840 ; 4-byte Folded Spill
	;; [unrolled: 5-line block ×4, first 2 shown]
	v_mul_f64 v[234:235], v[144:145], v[176:177]
	v_mul_f64 v[144:145], v[142:143], v[172:173]
	v_fma_f64 v[144:145], v[140:141], v[170:171], -v[144:145]
	v_mul_f64 v[198:199], v[140:141], v[172:173]
	v_mul_f64 v[140:141], v[138:139], v[168:169]
	v_fma_f64 v[228:229], v[136:137], v[166:167], -v[140:141]
	v_mul_f64 v[230:231], v[136:137], v[168:169]
	v_mul_f64 v[136:137], v[134:135], v[164:165]
	;; [unrolled: 1-line block ×3, first 2 shown]
	v_fmac_f64_e32 v[230:231], v[138:139], v[166:167]
	v_fma_f64 v[240:241], v[132:133], v[162:163], -v[136:137]
	v_fmac_f64_e32 v[242:243], v[134:135], v[162:163]
	global_load_dwordx4 v[134:137], v[148:149], off offset:752
	global_load_dwordx4 v[138:141], v[148:149], off offset:736
	s_waitcnt vmcnt(0)
	buffer_store_dword v138, off, s[40:43], 0 offset:944 ; 4-byte Folded Spill
	s_nop 0
	buffer_store_dword v139, off, s[40:43], 0 offset:948 ; 4-byte Folded Spill
	buffer_store_dword v140, off, s[40:43], 0 offset:952 ; 4-byte Folded Spill
	;; [unrolled: 1-line block ×4, first 2 shown]
	s_nop 0
	buffer_store_dword v135, off, s[40:43], 0 offset:964 ; 4-byte Folded Spill
	buffer_store_dword v136, off, s[40:43], 0 offset:968 ; 4-byte Folded Spill
	;; [unrolled: 1-line block ×3, first 2 shown]
	v_fmac_f64_e32 v[198:199], v[142:143], v[170:171]
	v_fmac_f64_e32 v[234:235], v[146:147], v[174:175]
	v_mul_f64 v[132:133], v[130:131], v[140:141]
	v_mul_f64 v[250:251], v[124:125], v[136:137]
	v_fma_f64 v[200:201], v[128:129], v[138:139], -v[132:133]
	v_mul_f64 v[202:203], v[128:129], v[140:141]
	v_mul_f64 v[128:129], v[126:127], v[136:137]
	v_fmac_f64_e32 v[250:251], v[126:127], v[134:135]
	v_accvgpr_read_b32 v126, a7
	v_fma_f64 v[248:249], v[124:125], v[134:135], -v[128:129]
	v_mul_lo_u16_sdwa v124, v126, s36 dst_sel:DWORD dst_unused:UNUSED_PAD src0_sel:BYTE_0 src1_sel:DWORD
	v_sub_u16_sdwa v125, v126, v124 dst_sel:DWORD dst_unused:UNUSED_PAD src0_sel:DWORD src1_sel:BYTE_1
	v_lshrrev_b16_e32 v125, 1, v125
	v_and_b32_e32 v125, 0x7f, v125
	v_add_u16_sdwa v124, v125, v124 dst_sel:DWORD dst_unused:UNUSED_PAD src0_sel:DWORD src1_sel:BYTE_1
	v_lshrrev_b16_e32 v124, 5, v124
	v_mul_lo_u16_e32 v124, 49, v124
	v_sub_u16_e32 v124, v126, v124
	v_and_b32_e32 v126, 0xff, v124
	v_mad_u64_u32 v[124:125], s[38:39], v126, s35, v[220:221]
	v_fmac_f64_e32 v[202:203], v[130:131], v[138:139]
	global_load_dwordx4 v[128:131], v[124:125], off offset:720
	global_load_dwordx4 v[132:135], v[124:125], off offset:704
	;; [unrolled: 1-line block ×4, first 2 shown]
	s_waitcnt vmcnt(0)
	buffer_store_dword v140, off, s[40:43], 0 offset:1168 ; 4-byte Folded Spill
	s_nop 0
	buffer_store_dword v141, off, s[40:43], 0 offset:1172 ; 4-byte Folded Spill
	buffer_store_dword v142, off, s[40:43], 0 offset:1176 ; 4-byte Folded Spill
	buffer_store_dword v143, off, s[40:43], 0 offset:1180 ; 4-byte Folded Spill
	buffer_store_dword v136, off, s[40:43], 0 offset:1184 ; 4-byte Folded Spill
	s_nop 0
	buffer_store_dword v137, off, s[40:43], 0 offset:1188 ; 4-byte Folded Spill
	buffer_store_dword v138, off, s[40:43], 0 offset:1192 ; 4-byte Folded Spill
	buffer_store_dword v139, off, s[40:43], 0 offset:1196 ; 4-byte Folded Spill
	buffer_store_dword v132, off, s[40:43], 0 offset:1232 ; 4-byte Folded Spill
	s_nop 0
	buffer_store_dword v133, off, s[40:43], 0 offset:1236 ; 4-byte Folded Spill
	buffer_store_dword v134, off, s[40:43], 0 offset:1240 ; 4-byte Folded Spill
	buffer_store_dword v135, off, s[40:43], 0 offset:1244 ; 4-byte Folded Spill
	buffer_store_dword v128, off, s[40:43], 0 offset:1264 ; 4-byte Folded Spill
	s_nop 0
	buffer_store_dword v129, off, s[40:43], 0 offset:1268 ; 4-byte Folded Spill
	buffer_store_dword v130, off, s[40:43], 0 offset:1272 ; 4-byte Folded Spill
	buffer_store_dword v131, off, s[40:43], 0 offset:1276 ; 4-byte Folded Spill
	v_accvgpr_write_b32 a7, v126
	v_mul_f64 v[126:127], v[122:123], v[142:143]
	v_fma_f64 v[224:225], v[120:121], v[140:141], -v[126:127]
	v_mul_f64 v[120:121], v[120:121], v[142:143]
	v_fmac_f64_e32 v[120:121], v[122:123], v[140:141]
	v_mul_f64 v[122:123], v[118:119], v[138:139]
	v_fma_f64 v[122:123], v[116:117], v[136:137], -v[122:123]
	v_mul_f64 v[226:227], v[116:117], v[138:139]
	v_mul_f64 v[116:117], v[114:115], v[134:135]
	v_fma_f64 v[116:117], v[112:113], v[132:133], -v[116:117]
	v_mul_f64 v[112:113], v[112:113], v[134:135]
	v_fmac_f64_e32 v[112:113], v[114:115], v[132:133]
	v_mul_f64 v[114:115], v[110:111], v[130:131]
	v_fma_f64 v[114:115], v[108:109], v[128:129], -v[114:115]
	v_mul_f64 v[108:109], v[108:109], v[130:131]
	v_fmac_f64_e32 v[108:109], v[110:111], v[128:129]
	global_load_dwordx4 v[126:129], v[124:125], off offset:752
	global_load_dwordx4 v[130:133], v[124:125], off offset:736
	s_waitcnt vmcnt(0)
	buffer_store_dword v130, off, s[40:43], 0 offset:1344 ; 4-byte Folded Spill
	s_nop 0
	buffer_store_dword v131, off, s[40:43], 0 offset:1348 ; 4-byte Folded Spill
	buffer_store_dword v132, off, s[40:43], 0 offset:1352 ; 4-byte Folded Spill
	;; [unrolled: 1-line block ×4, first 2 shown]
	s_nop 0
	buffer_store_dword v127, off, s[40:43], 0 offset:1364 ; 4-byte Folded Spill
	buffer_store_dword v128, off, s[40:43], 0 offset:1368 ; 4-byte Folded Spill
	;; [unrolled: 1-line block ×3, first 2 shown]
	v_fmac_f64_e32 v[226:227], v[118:119], v[136:137]
	v_accvgpr_read_b32 v118, a8
	v_mul_f64 v[110:111], v[106:107], v[132:133]
	v_fma_f64 v[110:111], v[104:105], v[130:131], -v[110:111]
	v_mul_f64 v[104:105], v[104:105], v[132:133]
	v_fmac_f64_e32 v[104:105], v[106:107], v[130:131]
	v_mul_f64 v[106:107], v[102:103], v[128:129]
	v_fma_f64 v[106:107], v[100:101], v[126:127], -v[106:107]
	v_mul_f64 v[100:101], v[100:101], v[128:129]
	v_fmac_f64_e32 v[100:101], v[102:103], v[126:127]
	v_mul_lo_u16_sdwa v102, v118, s36 dst_sel:DWORD dst_unused:UNUSED_PAD src0_sel:BYTE_0 src1_sel:DWORD
	v_sub_u16_sdwa v103, v118, v102 dst_sel:DWORD dst_unused:UNUSED_PAD src0_sel:DWORD src1_sel:BYTE_1
	v_lshrrev_b16_e32 v103, 1, v103
	v_and_b32_e32 v103, 0x7f, v103
	v_add_u16_sdwa v102, v103, v102 dst_sel:DWORD dst_unused:UNUSED_PAD src0_sel:DWORD src1_sel:BYTE_1
	v_lshrrev_b16_e32 v102, 5, v102
	v_mul_lo_u16_e32 v102, 49, v102
	v_sub_u16_e32 v102, v118, v102
	v_and_b32_e32 v118, 0xff, v102
	v_mad_u64_u32 v[102:103], s[36:37], v118, s35, v[220:221]
	global_load_dwordx4 v[136:139], v[102:103], off offset:720
	global_load_dwordx4 v[128:131], v[102:103], off offset:704
	;; [unrolled: 1-line block ×4, first 2 shown]
	v_accvgpr_write_b32 a16, v118
	s_movk_i32 s36, 0x4e5f
	s_waitcnt vmcnt(0)
	v_mul_f64 v[118:119], v[98:99], v[142:143]
	v_fma_f64 v[132:133], v[96:97], v[140:141], -v[118:119]
	buffer_store_dword v140, off, s[40:43], 0 offset:1504 ; 4-byte Folded Spill
	s_nop 0
	buffer_store_dword v141, off, s[40:43], 0 offset:1508 ; 4-byte Folded Spill
	buffer_store_dword v142, off, s[40:43], 0 offset:1512 ; 4-byte Folded Spill
	;; [unrolled: 1-line block ×4, first 2 shown]
	s_nop 0
	buffer_store_dword v125, off, s[40:43], 0 offset:1524 ; 4-byte Folded Spill
	buffer_store_dword v126, off, s[40:43], 0 offset:1528 ; 4-byte Folded Spill
	;; [unrolled: 1-line block ×3, first 2 shown]
	v_mul_f64 v[134:135], v[96:97], v[142:143]
	v_mul_f64 v[96:97], v[94:95], v[126:127]
	;; [unrolled: 1-line block ×3, first 2 shown]
	v_fma_f64 v[148:149], v[92:93], v[124:125], -v[96:97]
	v_fmac_f64_e32 v[126:127], v[94:95], v[124:125]
	v_pk_mov_b32 v[94:95], v[128:129], v[128:129] op_sel:[0,1]
	v_pk_mov_b32 v[96:97], v[130:131], v[130:131] op_sel:[0,1]
	buffer_store_dword v94, off, s[40:43], 0 offset:1536 ; 4-byte Folded Spill
	s_nop 0
	buffer_store_dword v95, off, s[40:43], 0 offset:1540 ; 4-byte Folded Spill
	buffer_store_dword v96, off, s[40:43], 0 offset:1544 ; 4-byte Folded Spill
	;; [unrolled: 1-line block ×3, first 2 shown]
	v_fmac_f64_e32 v[134:135], v[98:99], v[140:141]
	v_mul_f64 v[92:93], v[90:91], v[96:97]
	v_mul_f64 v[130:131], v[88:89], v[96:97]
	v_fma_f64 v[128:129], v[88:89], v[94:95], -v[92:93]
	v_fmac_f64_e32 v[130:131], v[90:91], v[94:95]
	v_pk_mov_b32 v[90:91], v[136:137], v[136:137] op_sel:[0,1]
	v_pk_mov_b32 v[92:93], v[138:139], v[138:139] op_sel:[0,1]
	buffer_store_dword v90, off, s[40:43], 0 offset:1552 ; 4-byte Folded Spill
	s_nop 0
	buffer_store_dword v91, off, s[40:43], 0 offset:1556 ; 4-byte Folded Spill
	buffer_store_dword v92, off, s[40:43], 0 offset:1560 ; 4-byte Folded Spill
	;; [unrolled: 1-line block ×3, first 2 shown]
	v_mul_f64 v[88:89], v[86:87], v[92:93]
	v_mul_f64 v[138:139], v[84:85], v[92:93]
	v_fma_f64 v[136:137], v[84:85], v[90:91], -v[88:89]
	v_fmac_f64_e32 v[138:139], v[86:87], v[90:91]
	global_load_dwordx4 v[86:89], v[102:103], off offset:752
	global_load_dwordx4 v[90:93], v[102:103], off offset:736
	s_waitcnt vmcnt(0)
	v_mul_f64 v[84:85], v[82:83], v[92:93]
	v_fma_f64 v[140:141], v[80:81], v[90:91], -v[84:85]
	buffer_store_dword v90, off, s[40:43], 0 offset:1588 ; 4-byte Folded Spill
	s_nop 0
	buffer_store_dword v91, off, s[40:43], 0 offset:1592 ; 4-byte Folded Spill
	buffer_store_dword v92, off, s[40:43], 0 offset:1596 ; 4-byte Folded Spill
	buffer_store_dword v93, off, s[40:43], 0 offset:1600 ; 4-byte Folded Spill
	buffer_store_dword v86, off, s[40:43], 0 offset:1604 ; 4-byte Folded Spill
	s_nop 0
	buffer_store_dword v87, off, s[40:43], 0 offset:1608 ; 4-byte Folded Spill
	buffer_store_dword v88, off, s[40:43], 0 offset:1612 ; 4-byte Folded Spill
	;; [unrolled: 1-line block ×3, first 2 shown]
	v_mul_f64 v[142:143], v[80:81], v[92:93]
	v_mul_f64 v[146:147], v[76:77], v[88:89]
	;; [unrolled: 1-line block ×3, first 2 shown]
	v_fmac_f64_e32 v[146:147], v[78:79], v[86:87]
	v_accvgpr_read_b32 v78, a9
	v_fma_f64 v[124:125], v[76:77], v[86:87], -v[80:81]
	v_mul_u32_u24_sdwa v76, v78, s36 dst_sel:DWORD dst_unused:UNUSED_PAD src0_sel:WORD_0 src1_sel:DWORD
	v_sub_u16_sdwa v77, v78, v76 dst_sel:DWORD dst_unused:UNUSED_PAD src0_sel:DWORD src1_sel:WORD_1
	v_lshrrev_b16_e32 v77, 1, v77
	v_add_u16_sdwa v76, v77, v76 dst_sel:DWORD dst_unused:UNUSED_PAD src0_sel:DWORD src1_sel:WORD_1
	v_lshrrev_b16_e32 v76, 5, v76
	v_mul_lo_u16_e32 v76, 49, v76
	v_sub_u16_e32 v77, v78, v76
	v_mul_lo_u16_e32 v76, 0x60, v77
	v_add_co_u32_e32 v76, vcc, s10, v76
	v_mov_b32_e32 v80, s11
	v_accvgpr_write_b32 a17, v77
	v_addc_co_u32_e32 v77, vcc, 0, v80, vcc
	v_fmac_f64_e32 v[142:143], v[82:83], v[90:91]
	global_load_dwordx4 v[82:85], v[76:77], off offset:720
	global_load_dwordx4 v[86:89], v[76:77], off offset:704
	;; [unrolled: 1-line block ×4, first 2 shown]
	s_movk_i32 s11, 0x1540
	s_waitcnt vmcnt(3) lgkmcnt(9)
	v_mul_f64 v[162:163], v[60:61], v[84:85]
	s_waitcnt vmcnt(2)
	v_mul_f64 v[150:151], v[64:65], v[88:89]
	v_fmac_f64_e32 v[150:151], v[66:67], v[86:87]
	s_waitcnt vmcnt(0)
	v_mul_f64 v[78:79], v[74:75], v[96:97]
	v_fma_f64 v[176:177], v[72:73], v[94:95], -v[78:79]
	buffer_store_dword v94, off, s[40:43], 0 offset:1824 ; 4-byte Folded Spill
	s_nop 0
	buffer_store_dword v95, off, s[40:43], 0 offset:1828 ; 4-byte Folded Spill
	buffer_store_dword v96, off, s[40:43], 0 offset:1832 ; 4-byte Folded Spill
	;; [unrolled: 1-line block ×4, first 2 shown]
	s_nop 0
	buffer_store_dword v91, off, s[40:43], 0 offset:1844 ; 4-byte Folded Spill
	buffer_store_dword v92, off, s[40:43], 0 offset:1848 ; 4-byte Folded Spill
	;; [unrolled: 1-line block ×3, first 2 shown]
	v_fmac_f64_e32 v[162:163], v[62:63], v[82:83]
	v_accvgpr_write_b32 a251, v85
	v_accvgpr_write_b32 a250, v84
	;; [unrolled: 1-line block ×5, first 2 shown]
	v_add_f64 v[78:79], v[242:243], -v[230:231]
	v_accvgpr_write_b32 a254, v88
	v_accvgpr_write_b32 a253, v87
	;; [unrolled: 1-line block ×3, first 2 shown]
	v_mul_f64 v[154:155], v[72:73], v[96:97]
	v_mul_f64 v[72:73], v[70:71], v[92:93]
	v_fma_f64 v[180:181], v[68:69], v[90:91], -v[72:73]
	v_mul_f64 v[158:159], v[68:69], v[92:93]
	v_mul_f64 v[68:69], v[66:67], v[88:89]
	v_fma_f64 v[184:185], v[64:65], v[86:87], -v[68:69]
	v_mul_f64 v[64:65], v[62:63], v[84:85]
	v_fma_f64 v[172:173], v[60:61], v[82:83], -v[64:65]
	global_load_dwordx4 v[62:65], v[76:77], off offset:752
	global_load_dwordx4 v[66:69], v[76:77], off offset:736
	v_fmac_f64_e32 v[158:159], v[70:71], v[90:91]
	v_fmac_f64_e32 v[154:155], v[74:75], v[94:95]
	s_waitcnt vmcnt(1) lgkmcnt(7)
	v_mul_f64 v[170:171], v[52:53], v[64:65]
	s_waitcnt vmcnt(0)
	v_mul_f64 v[60:61], v[58:59], v[68:69]
	v_fma_f64 v[164:165], v[56:57], v[66:67], -v[60:61]
	v_mul_f64 v[166:167], v[56:57], v[68:69]
	v_mul_f64 v[56:57], v[54:55], v[64:65]
	v_fmac_f64_e32 v[170:171], v[54:55], v[62:63]
	v_accvgpr_read_b32 v54, a5
	v_fma_f64 v[168:169], v[52:53], v[62:63], -v[56:57]
	v_mul_u32_u24_sdwa v52, v54, s36 dst_sel:DWORD dst_unused:UNUSED_PAD src0_sel:WORD_0 src1_sel:DWORD
	v_sub_u16_sdwa v53, v54, v52 dst_sel:DWORD dst_unused:UNUSED_PAD src0_sel:DWORD src1_sel:WORD_1
	v_lshrrev_b16_e32 v53, 1, v53
	v_add_u16_sdwa v52, v53, v52 dst_sel:DWORD dst_unused:UNUSED_PAD src0_sel:DWORD src1_sel:WORD_1
	v_lshrrev_b16_e32 v52, 5, v52
	v_mul_lo_u16_e32 v52, 49, v52
	v_sub_u16_e32 v53, v54, v52
	v_mul_lo_u16_e32 v52, 0x60, v53
	v_add_co_u32_e32 v52, vcc, s10, v52
	v_accvgpr_write_b32 a247, v69
	v_accvgpr_write_b32 a243, v65
	;; [unrolled: 1-line block ×3, first 2 shown]
	v_addc_co_u32_e32 v53, vcc, 0, v80, vcc
	v_fmac_f64_e32 v[166:167], v[58:59], v[66:67]
	v_accvgpr_write_b32 a246, v68
	v_accvgpr_write_b32 a245, v67
	;; [unrolled: 1-line block ×6, first 2 shown]
	global_load_dwordx4 v[56:59], v[52:53], off offset:720
	global_load_dwordx4 v[60:63], v[52:53], off offset:704
	global_load_dwordx4 v[64:67], v[52:53], off offset:688
	global_load_dwordx4 v[68:71], v[52:53], off offset:672
	s_movk_i32 s10, 0x1500
	s_waitcnt vmcnt(3) lgkmcnt(2)
	v_mul_f64 v[186:187], v[28:29], v[58:59]
	s_waitcnt vmcnt(2)
	v_mul_f64 v[174:175], v[32:33], v[62:63]
	s_waitcnt vmcnt(1)
	;; [unrolled: 2-line block ×3, first 2 shown]
	v_mul_f64 v[54:55], v[42:43], v[70:71]
	v_fma_f64 v[54:55], v[40:41], v[68:69], -v[54:55]
	v_mul_f64 v[182:183], v[40:41], v[70:71]
	v_mul_f64 v[40:41], v[38:39], v[66:67]
	v_fma_f64 v[40:41], v[36:37], v[64:65], -v[40:41]
	v_mul_f64 v[36:37], v[34:35], v[62:63]
	v_fma_f64 v[36:37], v[32:33], v[60:61], -v[36:37]
	;; [unrolled: 2-line block ×3, first 2 shown]
	v_accvgpr_write_b32 a8, v36
	v_accvgpr_write_b32 a26, v32
	;; [unrolled: 1-line block ×3, first 2 shown]
	v_fmac_f64_e32 v[174:175], v[34:35], v[60:61]
	v_accvgpr_write_b32 a27, v33
	v_fmac_f64_e32 v[186:187], v[30:31], v[56:57]
	global_load_dwordx4 v[30:33], v[52:53], off offset:752
	global_load_dwordx4 v[34:37], v[52:53], off offset:736
	v_fmac_f64_e32 v[178:179], v[38:39], v[64:65]
	v_fmac_f64_e32 v[182:183], v[42:43], v[68:69]
	v_accvgpr_write_b32 a22, v40
	v_accvgpr_write_b32 a23, v41
	;; [unrolled: 1-line block ×20, first 2 shown]
	s_waitcnt lgkmcnt(0)
	; wave barrier
	s_waitcnt vmcnt(1) lgkmcnt(0)
	v_mul_f64 v[194:195], v[20:21], v[32:33]
	s_waitcnt vmcnt(0)
	v_mul_f64 v[28:29], v[26:27], v[36:37]
	v_fma_f64 v[28:29], v[24:25], v[34:35], -v[28:29]
	v_mul_f64 v[190:191], v[24:25], v[36:37]
	v_mul_f64 v[24:25], v[22:23], v[32:33]
	v_accvgpr_write_b32 a28, v28
	v_fma_f64 v[188:189], v[20:21], v[30:31], -v[24:25]
	v_fmac_f64_e32 v[194:195], v[22:23], v[30:31]
	v_accvgpr_write_b32 a169, v33
	v_add_f64 v[20:21], v[18:19], v[16:17]
	v_add_f64 v[22:23], v[14:15], v[0:1]
	v_add_f64 v[0:1], v[14:15], -v[0:1]
	v_add_f64 v[14:15], v[192:193], v[50:51]
	v_accvgpr_write_b32 a29, v29
	v_fmac_f64_e32 v[190:191], v[26:27], v[34:35]
	v_accvgpr_write_b32 a173, v37
	v_accvgpr_write_b32 a168, v32
	;; [unrolled: 1-line block ×4, first 2 shown]
	v_add_f64 v[16:17], v[18:19], -v[16:17]
	v_add_f64 v[18:19], v[46:47], v[2:3]
	v_add_f64 v[24:25], v[192:193], -v[50:51]
	v_add_f64 v[26:27], v[48:49], v[44:45]
	v_add_f64 v[28:29], v[6:7], v[4:5]
	v_add_f64 v[30:31], v[44:45], -v[48:49]
	v_add_f64 v[4:5], v[4:5], -v[6:7]
	v_add_f64 v[6:7], v[14:15], v[20:21]
	v_accvgpr_write_b32 a172, v36
	v_accvgpr_write_b32 a171, v35
	;; [unrolled: 1-line block ×3, first 2 shown]
	v_add_f64 v[32:33], v[18:19], v[22:23]
	v_add_f64 v[36:37], v[18:19], -v[22:23]
	v_add_f64 v[38:39], v[28:29], -v[18:19]
	v_add_f64 v[18:19], v[30:31], v[24:25]
	v_add_f64 v[6:7], v[26:27], v[6:7]
	v_add_f64 v[2:3], v[46:47], -v[2:3]
	v_add_f64 v[34:35], v[14:15], -v[20:21]
	;; [unrolled: 1-line block ×8, first 2 shown]
	v_add_f64 v[26:27], v[28:29], v[32:33]
	v_add_f64 v[28:29], v[18:19], v[16:17]
	;; [unrolled: 1-line block ×4, first 2 shown]
	v_add_f64 v[44:45], v[4:5], -v[2:3]
	v_add_f64 v[18:19], v[214:215], v[26:27]
	v_pk_mov_b32 v[50:51], v[16:17], v[16:17] op_sel:[0,1]
	v_add_f64 v[4:5], v[0:1], -v[4:5]
	v_add_f64 v[2:3], v[2:3], -v[0:1]
	v_add_f64 v[0:1], v[40:41], v[0:1]
	v_mul_f64 v[20:21], v[20:21], s[22:23]
	v_mul_f64 v[22:23], v[22:23], s[22:23]
	;; [unrolled: 1-line block ×6, first 2 shown]
	v_fmac_f64_e32 v[50:51], s[20:21], v[6:7]
	v_pk_mov_b32 v[6:7], v[18:19], v[18:19] op_sel:[0,1]
	v_mul_f64 v[42:43], v[42:43], s[24:25]
	v_mul_f64 v[48:49], v[2:3], s[6:7]
	v_fmac_f64_e32 v[6:7], s[20:21], v[26:27]
	v_fma_f64 v[26:27], v[34:35], s[8:9], -v[32:33]
	v_fma_f64 v[32:33], v[36:37], s[8:9], -v[40:41]
	;; [unrolled: 1-line block ×3, first 2 shown]
	v_fmac_f64_e32 v[20:21], s[4:5], v[14:15]
	v_fma_f64 v[14:15], v[36:37], s[16:17], -v[22:23]
	v_fmac_f64_e32 v[22:23], s[4:5], v[38:39]
	v_fma_f64 v[2:3], v[2:3], s[26:27], -v[44:45]
	;; [unrolled: 2-line block ×3, first 2 shown]
	v_fmac_f64_e32 v[42:43], s[14:15], v[30:31]
	v_fmac_f64_e32 v[44:45], s[14:15], v[4:5]
	;; [unrolled: 1-line block ×3, first 2 shown]
	v_add_f64 v[52:53], v[22:23], v[6:7]
	v_add_f64 v[38:39], v[26:27], v[50:51]
	;; [unrolled: 1-line block ×4, first 2 shown]
	v_fmac_f64_e32 v[2:3], s[2:3], v[0:1]
	v_fmac_f64_e32 v[46:47], s[2:3], v[28:29]
	;; [unrolled: 1-line block ×6, first 2 shown]
	v_add_f64 v[22:23], v[6:7], -v[46:47]
	v_add_f64 v[28:29], v[38:39], -v[2:3]
	v_add_f64 v[32:33], v[2:3], v[38:39]
	v_add_f64 v[38:39], v[46:47], v[6:7]
	;; [unrolled: 1-line block ×4, first 2 shown]
	v_add_f64 v[6:7], v[254:255], -v[10:11]
	v_add_f64 v[10:11], v[208:209], v[156:157]
	v_add_f64 v[4:5], v[20:21], v[50:51]
	;; [unrolled: 1-line block ×3, first 2 shown]
	v_add_f64 v[26:27], v[52:53], -v[42:43]
	v_add_f64 v[42:43], v[42:43], v[52:53]
	v_add_f64 v[14:15], v[210:211], v[8:9]
	;; [unrolled: 1-line block ×6, first 2 shown]
	v_add_f64 v[34:35], v[40:41], -v[36:37]
	v_add_f64 v[36:37], v[50:51], -v[48:49]
	;; [unrolled: 1-line block ×3, first 2 shown]
	v_add_f64 v[48:49], v[206:207], v[12:13]
	v_add_f64 v[12:13], v[12:13], -v[206:207]
	v_add_f64 v[54:55], v[14:15], v[2:3]
	v_add_f64 v[56:57], v[10:11], -v[0:1]
	v_add_f64 v[0:1], v[0:1], -v[46:47]
	;; [unrolled: 1-line block ×3, first 2 shown]
	v_add_f64 v[46:47], v[46:47], v[52:53]
	v_add_f64 v[24:25], v[44:45], v[4:5]
	v_add_f64 v[40:41], v[4:5], -v[44:45]
	v_add_f64 v[4:5], v[252:253], -v[152:153]
	;; [unrolled: 1-line block ×7, first 2 shown]
	v_add_f64 v[62:63], v[12:13], v[8:9]
	v_add_f64 v[52:53], v[48:49], v[54:55]
	;; [unrolled: 1-line block ×4, first 2 shown]
	v_add_f64 v[64:65], v[50:51], -v[44:45]
	v_add_f64 v[66:67], v[12:13], -v[8:9]
	;; [unrolled: 1-line block ×5, first 2 shown]
	v_add_f64 v[6:7], v[62:63], v[6:7]
	v_add_f64 v[50:51], v[218:219], v[52:53]
	v_pk_mov_b32 v[62:63], v[48:49], v[48:49] op_sel:[0,1]
	v_add_f64 v[44:45], v[44:45], -v[4:5]
	v_mul_f64 v[0:1], v[0:1], s[22:23]
	v_mul_f64 v[54:55], v[10:11], s[4:5]
	;; [unrolled: 1-line block ×3, first 2 shown]
	v_fmac_f64_e32 v[62:63], s[20:21], v[46:47]
	v_pk_mov_b32 v[46:47], v[50:51], v[50:51] op_sel:[0,1]
	v_add_f64 v[4:5], v[60:61], v[4:5]
	v_mul_f64 v[2:3], v[2:3], s[22:23]
	v_mul_f64 v[60:61], v[14:15], s[4:5]
	;; [unrolled: 1-line block ×5, first 2 shown]
	v_fmac_f64_e32 v[46:47], s[20:21], v[52:53]
	v_fma_f64 v[52:53], v[56:57], s[8:9], -v[54:55]
	v_fma_f64 v[56:57], v[56:57], s[16:17], -v[0:1]
	v_fmac_f64_e32 v[0:1], s[4:5], v[10:11]
	v_fma_f64 v[8:9], v[8:9], s[26:27], -v[72:73]
	v_fmac_f64_e32 v[72:73], s[14:15], v[12:13]
	v_fma_f64 v[54:55], v[58:59], s[8:9], -v[60:61]
	v_fma_f64 v[10:11], v[58:59], s[16:17], -v[2:3]
	v_fmac_f64_e32 v[2:3], s[4:5], v[14:15]
	v_fma_f64 v[14:15], v[44:45], s[26:27], -v[74:75]
	v_fmac_f64_e32 v[74:75], s[14:15], v[68:69]
	v_fmac_f64_e32 v[70:71], s[18:19], v[68:69]
	;; [unrolled: 1-line block ×3, first 2 shown]
	v_add_f64 v[0:1], v[0:1], v[62:63]
	v_add_f64 v[12:13], v[52:53], v[62:63]
	v_fmac_f64_e32 v[72:73], s[2:3], v[6:7]
	v_fmac_f64_e32 v[8:9], s[2:3], v[6:7]
	v_add_f64 v[2:3], v[2:3], v[46:47]
	v_add_f64 v[44:45], v[54:55], v[46:47]
	;; [unrolled: 1-line block ×4, first 2 shown]
	v_fmac_f64_e32 v[74:75], s[2:3], v[4:5]
	v_fmac_f64_e32 v[14:15], s[2:3], v[4:5]
	;; [unrolled: 1-line block ×3, first 2 shown]
	v_add_f64 v[56:57], v[72:73], v[0:1]
	v_add_f64 v[60:61], v[12:13], -v[8:9]
	v_add_f64 v[64:65], v[8:9], v[12:13]
	v_add_f64 v[72:73], v[0:1], -v[72:73]
	v_add_f64 v[0:1], v[232:233], v[248:249]
	v_add_f64 v[8:9], v[144:145], v[200:201]
	v_add_f64 v[58:59], v[2:3], -v[74:75]
	v_add_f64 v[54:55], v[10:11], -v[70:71]
	v_add_f64 v[62:63], v[14:15], v[44:45]
	v_add_f64 v[66:67], v[44:45], -v[14:15]
	v_add_f64 v[70:71], v[70:71], v[10:11]
	v_add_f64 v[74:75], v[74:75], v[2:3]
	;; [unrolled: 1-line block ×6, first 2 shown]
	v_fmac_f64_e32 v[76:77], s[2:3], v[6:7]
	v_add_f64 v[46:47], v[230:231], v[242:243]
	v_add_f64 v[82:83], v[10:11], v[2:3]
	;; [unrolled: 1-line block ×4, first 2 shown]
	v_add_f64 v[68:69], v[68:69], -v[76:77]
	v_add_f64 v[4:5], v[232:233], -v[248:249]
	v_add_f64 v[12:13], v[144:145], -v[200:201]
	v_add_f64 v[14:15], v[198:199], -v[202:203]
	v_add_f64 v[76:77], v[240:241], -v[228:229]
	v_add_f64 v[84:85], v[8:9], -v[0:1]
	v_add_f64 v[0:1], v[0:1], -v[44:45]
	v_add_f64 v[8:9], v[44:45], -v[8:9]
	v_add_f64 v[82:83], v[46:47], v[82:83]
	v_add_f64 v[44:45], v[236:237], v[80:81]
	v_add_f64 v[6:7], v[234:235], -v[250:251]
	v_add_f64 v[86:87], v[10:11], -v[2:3]
	;; [unrolled: 1-line block ×4, first 2 shown]
	v_add_f64 v[88:89], v[76:77], v[12:13]
	v_add_f64 v[92:93], v[76:77], -v[12:13]
	v_add_f64 v[94:95], v[78:79], -v[14:15]
	;; [unrolled: 1-line block ×3, first 2 shown]
	v_add_f64 v[46:47], v[238:239], v[82:83]
	v_pk_mov_b32 v[102:103], v[44:45], v[44:45] op_sel:[0,1]
	v_add_f64 v[90:91], v[78:79], v[14:15]
	v_add_f64 v[76:77], v[4:5], -v[76:77]
	v_add_f64 v[78:79], v[6:7], -v[78:79]
	;; [unrolled: 1-line block ×3, first 2 shown]
	v_add_f64 v[4:5], v[88:89], v[4:5]
	v_mul_f64 v[0:1], v[0:1], s[22:23]
	v_mul_f64 v[2:3], v[2:3], s[22:23]
	;; [unrolled: 1-line block ×6, first 2 shown]
	v_fmac_f64_e32 v[102:103], s[20:21], v[80:81]
	v_pk_mov_b32 v[80:81], v[46:47], v[46:47] op_sel:[0,1]
	v_add_f64 v[6:7], v[90:91], v[6:7]
	v_mul_f64 v[90:91], v[10:11], s[4:5]
	v_mul_f64 v[92:93], v[14:15], s[6:7]
	v_fmac_f64_e32 v[80:81], s[20:21], v[82:83]
	v_fma_f64 v[82:83], v[84:85], s[8:9], -v[88:89]
	v_fma_f64 v[84:85], v[84:85], s[16:17], -v[0:1]
	v_fmac_f64_e32 v[0:1], s[4:5], v[8:9]
	v_fma_f64 v[8:9], v[86:87], s[16:17], -v[2:3]
	v_fmac_f64_e32 v[2:3], s[4:5], v[10:11]
	v_fma_f64 v[10:11], v[12:13], s[26:27], -v[98:99]
	v_fma_f64 v[12:13], v[14:15], s[26:27], -v[96:97]
	v_fmac_f64_e32 v[96:97], s[14:15], v[78:79]
	v_fmac_f64_e32 v[94:95], s[18:19], v[76:77]
	v_fma_f64 v[88:89], v[86:87], s[8:9], -v[90:91]
	v_fmac_f64_e32 v[98:99], s[14:15], v[76:77]
	v_fmac_f64_e32 v[92:93], s[18:19], v[78:79]
	v_add_f64 v[0:1], v[0:1], v[102:103]
	v_add_f64 v[8:9], v[8:9], v[80:81]
	v_fmac_f64_e32 v[96:97], s[2:3], v[6:7]
	v_fmac_f64_e32 v[94:95], s[2:3], v[4:5]
	v_add_f64 v[2:3], v[2:3], v[80:81]
	v_add_f64 v[14:15], v[82:83], v[102:103]
	;; [unrolled: 1-line block ×4, first 2 shown]
	v_fmac_f64_e32 v[98:99], s[2:3], v[4:5]
	v_fmac_f64_e32 v[10:11], s[2:3], v[4:5]
	;; [unrolled: 1-line block ×3, first 2 shown]
	v_add_f64 v[80:81], v[96:97], v[0:1]
	v_add_f64 v[78:79], v[8:9], -v[94:95]
	v_add_f64 v[94:95], v[94:95], v[8:9]
	v_add_f64 v[96:97], v[0:1], -v[96:97]
	v_add_f64 v[0:1], v[224:225], v[106:107]
	v_add_f64 v[8:9], v[122:123], v[110:111]
	v_fmac_f64_e32 v[12:13], s[2:3], v[6:7]
	v_add_f64 v[82:83], v[2:3], -v[98:99]
	v_add_f64 v[76:77], v[92:93], v[102:103]
	v_add_f64 v[86:87], v[10:11], v[90:91]
	v_add_f64 v[90:91], v[90:91], -v[10:11]
	v_add_f64 v[92:93], v[102:103], -v[92:93]
	v_add_f64 v[98:99], v[98:99], v[2:3]
	v_add_f64 v[2:3], v[120:121], v[100:101]
	v_add_f64 v[4:5], v[224:225], -v[106:107]
	v_add_f64 v[6:7], v[120:121], -v[100:101]
	v_add_f64 v[10:11], v[226:227], v[104:105]
	v_add_f64 v[100:101], v[116:117], v[114:115]
	;; [unrolled: 1-line block ×3, first 2 shown]
	v_add_f64 v[106:107], v[108:109], -v[112:113]
	v_add_f64 v[108:109], v[8:9], v[0:1]
	v_add_f64 v[84:85], v[14:15], -v[12:13]
	v_add_f64 v[88:89], v[12:13], v[14:15]
	v_add_f64 v[12:13], v[122:123], -v[110:111]
	v_add_f64 v[14:15], v[226:227], -v[104:105]
	v_add_f64 v[104:105], v[114:115], -v[116:117]
	v_add_f64 v[110:111], v[10:11], v[2:3]
	v_add_f64 v[112:113], v[8:9], -v[0:1]
	v_add_f64 v[0:1], v[0:1], -v[100:101]
	;; [unrolled: 4-line block ×4, first 2 shown]
	v_add_f64 v[144:145], v[12:13], -v[4:5]
	v_add_f64 v[102:103], v[102:103], v[110:111]
	v_add_f64 v[12:13], v[244:245], v[100:101]
	;; [unrolled: 1-line block ×3, first 2 shown]
	v_add_f64 v[152:153], v[14:15], -v[6:7]
	v_add_f64 v[14:15], v[246:247], v[102:103]
	v_mul_f64 v[156:157], v[120:121], s[24:25]
	v_mul_f64 v[120:121], v[122:123], s[24:25]
	v_pk_mov_b32 v[122:123], v[12:13], v[12:13] op_sel:[0,1]
	v_add_f64 v[104:105], v[4:5], -v[104:105]
	v_add_f64 v[106:107], v[6:7], -v[106:107]
	v_add_f64 v[4:5], v[116:117], v[4:5]
	v_add_f64 v[6:7], v[118:119], v[6:7]
	v_mul_f64 v[0:1], v[0:1], s[22:23]
	v_mul_f64 v[2:3], v[2:3], s[22:23]
	;; [unrolled: 1-line block ×6, first 2 shown]
	v_fmac_f64_e32 v[122:123], s[20:21], v[100:101]
	v_pk_mov_b32 v[100:101], v[14:15], v[14:15] op_sel:[0,1]
	v_fmac_f64_e32 v[100:101], s[20:21], v[102:103]
	v_fma_f64 v[102:103], v[112:113], s[8:9], -v[108:109]
	v_fma_f64 v[108:109], v[114:115], s[8:9], -v[110:111]
	;; [unrolled: 1-line block ×3, first 2 shown]
	v_fmac_f64_e32 v[0:1], s[4:5], v[8:9]
	v_fma_f64 v[8:9], v[114:115], s[16:17], -v[2:3]
	v_fmac_f64_e32 v[2:3], s[4:5], v[10:11]
	v_fma_f64 v[10:11], v[144:145], s[26:27], -v[156:157]
	;; [unrolled: 2-line block ×3, first 2 shown]
	v_fmac_f64_e32 v[120:121], s[14:15], v[106:107]
	v_fmac_f64_e32 v[118:119], s[18:19], v[104:105]
	;; [unrolled: 1-line block ×3, first 2 shown]
	v_add_f64 v[0:1], v[0:1], v[122:123]
	v_add_f64 v[2:3], v[2:3], v[100:101]
	;; [unrolled: 1-line block ×6, first 2 shown]
	v_fmac_f64_e32 v[156:157], s[2:3], v[4:5]
	v_fmac_f64_e32 v[120:121], s[2:3], v[6:7]
	;; [unrolled: 1-line block ×6, first 2 shown]
	v_add_f64 v[104:105], v[120:121], v[0:1]
	v_add_f64 v[106:107], v[2:3], -v[156:157]
	v_add_f64 v[100:101], v[116:117], v[122:123]
	v_add_f64 v[102:103], v[8:9], -v[118:119]
	v_add_f64 v[108:109], v[114:115], -v[112:113]
	v_add_f64 v[110:111], v[10:11], v[144:145]
	v_add_f64 v[112:113], v[112:113], v[114:115]
	v_add_f64 v[114:115], v[144:145], -v[10:11]
	v_add_f64 v[116:117], v[122:123], -v[116:117]
	v_add_f64 v[118:119], v[118:119], v[8:9]
	v_add_f64 v[120:121], v[0:1], -v[120:121]
	v_add_f64 v[122:123], v[156:157], v[2:3]
	v_add_f64 v[0:1], v[132:133], v[124:125]
	;; [unrolled: 1-line block ×3, first 2 shown]
	v_add_f64 v[4:5], v[132:133], -v[124:125]
	v_add_f64 v[6:7], v[134:135], -v[146:147]
	v_add_f64 v[8:9], v[148:149], v[140:141]
	v_add_f64 v[10:11], v[126:127], v[142:143]
	v_add_f64 v[124:125], v[148:149], -v[140:141]
	v_add_f64 v[126:127], v[126:127], -v[142:143]
	v_add_f64 v[132:133], v[128:129], v[136:137]
	v_add_f64 v[134:135], v[130:131], v[138:139]
	;; [unrolled: 4-line block ×3, first 2 shown]
	v_add_f64 v[140:141], v[8:9], -v[0:1]
	v_add_f64 v[142:143], v[10:11], -v[2:3]
	;; [unrolled: 1-line block ×4, first 2 shown]
	v_add_f64 v[8:9], v[128:129], v[124:125]
	v_add_f64 v[10:11], v[130:131], v[126:127]
	v_add_f64 v[148:149], v[128:129], -v[124:125]
	v_add_f64 v[152:153], v[130:131], -v[126:127]
	;; [unrolled: 1-line block ×6, first 2 shown]
	v_add_f64 v[4:5], v[8:9], v[4:5]
	v_add_f64 v[6:7], v[10:11], v[6:7]
	v_accvgpr_read_b32 v8, a18
	v_add_f64 v[0:1], v[0:1], -v[132:133]
	v_add_f64 v[132:133], v[132:133], v[136:137]
	v_accvgpr_read_b32 v9, a19
	v_add_f64 v[2:3], v[2:3], -v[134:135]
	v_add_f64 v[134:135], v[134:135], v[138:139]
	v_accvgpr_read_b32 v10, a20
	v_accvgpr_read_b32 v11, a21
	v_add_f64 v[8:9], v[8:9], v[132:133]
	v_add_f64 v[10:11], v[10:11], v[134:135]
	v_pk_mov_b32 v[192:193], v[8:9], v[8:9] op_sel:[0,1]
	v_mul_f64 v[0:1], v[0:1], s[22:23]
	v_mul_f64 v[2:3], v[2:3], s[22:23]
	;; [unrolled: 1-line block ×8, first 2 shown]
	v_fmac_f64_e32 v[192:193], s[20:21], v[132:133]
	v_pk_mov_b32 v[132:133], v[10:11], v[10:11] op_sel:[0,1]
	v_fmac_f64_e32 v[132:133], s[20:21], v[134:135]
	v_fma_f64 v[134:135], v[140:141], s[8:9], -v[136:137]
	v_fma_f64 v[136:137], v[142:143], s[8:9], -v[138:139]
	;; [unrolled: 1-line block ×3, first 2 shown]
	v_fmac_f64_e32 v[0:1], s[4:5], v[144:145]
	v_fma_f64 v[140:141], v[142:143], s[16:17], -v[2:3]
	v_fmac_f64_e32 v[2:3], s[4:5], v[146:147]
	v_fma_f64 v[142:143], v[124:125], s[26:27], -v[148:149]
	;; [unrolled: 2-line block ×3, first 2 shown]
	v_fmac_f64_e32 v[152:153], s[14:15], v[130:131]
	v_fmac_f64_e32 v[156:157], s[18:19], v[128:129]
	;; [unrolled: 1-line block ×3, first 2 shown]
	v_add_f64 v[0:1], v[0:1], v[192:193]
	v_add_f64 v[2:3], v[2:3], v[132:133]
	;; [unrolled: 1-line block ×6, first 2 shown]
	v_fmac_f64_e32 v[148:149], s[2:3], v[4:5]
	v_fmac_f64_e32 v[152:153], s[2:3], v[6:7]
	;; [unrolled: 1-line block ×6, first 2 shown]
	v_add_f64 v[128:129], v[152:153], v[0:1]
	v_add_f64 v[130:131], v[2:3], -v[148:149]
	v_add_f64 v[124:125], v[160:161], v[192:193]
	v_add_f64 v[126:127], v[200:201], -v[156:157]
	v_add_f64 v[132:133], v[146:147], -v[144:145]
	v_add_f64 v[134:135], v[142:143], v[198:199]
	v_add_f64 v[136:137], v[144:145], v[146:147]
	v_add_f64 v[138:139], v[198:199], -v[142:143]
	v_add_f64 v[140:141], v[192:193], -v[160:161]
	v_add_f64 v[142:143], v[156:157], v[200:201]
	v_add_f64 v[144:145], v[0:1], -v[152:153]
	v_add_f64 v[146:147], v[148:149], v[2:3]
	v_add_f64 v[0:1], v[176:177], v[168:169]
	;; [unrolled: 1-line block ×3, first 2 shown]
	v_add_f64 v[6:7], v[154:155], -v[170:171]
	v_add_f64 v[148:149], v[180:181], v[164:165]
	v_add_f64 v[152:153], v[158:159], v[166:167]
	v_add_f64 v[154:155], v[180:181], -v[164:165]
	v_add_f64 v[156:157], v[158:159], -v[166:167]
	v_add_f64 v[160:161], v[150:151], v[162:163]
	v_add_f64 v[164:165], v[172:173], -v[184:185]
	v_add_f64 v[150:151], v[162:163], -v[150:151]
	;; [unrolled: 1-line block ×3, first 2 shown]
	v_add_f64 v[158:159], v[184:185], v[172:173]
	v_add_f64 v[162:163], v[148:149], v[0:1]
	;; [unrolled: 1-line block ×5, first 2 shown]
	v_add_f64 v[168:169], v[148:149], -v[0:1]
	v_add_f64 v[170:171], v[152:153], -v[2:3]
	;; [unrolled: 1-line block ×12, first 2 shown]
	v_add_f64 v[158:159], v[158:159], v[162:163]
	v_add_f64 v[160:161], v[160:161], v[166:167]
	;; [unrolled: 1-line block ×4, first 2 shown]
	v_accvgpr_read_b32 v4, a12
	v_accvgpr_read_b32 v5, a13
	;; [unrolled: 1-line block ×4, first 2 shown]
	v_add_f64 v[4:5], v[4:5], v[158:159]
	v_add_f64 v[6:7], v[6:7], v[160:161]
	v_pk_mov_b32 v[200:201], v[4:5], v[4:5] op_sel:[0,1]
	v_mul_f64 v[0:1], v[0:1], s[22:23]
	v_mul_f64 v[2:3], v[2:3], s[22:23]
	;; [unrolled: 1-line block ×5, first 2 shown]
	v_fmac_f64_e32 v[200:201], s[20:21], v[158:159]
	v_pk_mov_b32 v[158:159], v[6:7], v[6:7] op_sel:[0,1]
	v_mul_f64 v[180:181], v[180:181], s[24:25]
	v_mul_f64 v[184:185], v[184:185], s[24:25]
	;; [unrolled: 1-line block ×3, first 2 shown]
	v_fmac_f64_e32 v[158:159], s[20:21], v[160:161]
	v_fma_f64 v[160:161], v[168:169], s[8:9], -v[172:173]
	v_fma_f64 v[172:173], v[170:171], s[8:9], -v[176:177]
	;; [unrolled: 1-line block ×3, first 2 shown]
	v_fmac_f64_e32 v[0:1], s[4:5], v[148:149]
	v_fma_f64 v[148:149], v[170:171], s[16:17], -v[2:3]
	v_fmac_f64_e32 v[192:193], s[18:19], v[164:165]
	v_fma_f64 v[170:171], v[154:155], s[26:27], -v[180:181]
	;; [unrolled: 2-line block ×3, first 2 shown]
	v_fmac_f64_e32 v[184:185], s[14:15], v[150:151]
	v_fmac_f64_e32 v[198:199], s[18:19], v[150:151]
	v_add_f64 v[164:165], v[172:173], v[158:159]
	v_add_f64 v[172:173], v[148:149], v[158:159]
	v_fmac_f64_e32 v[192:193], s[2:3], v[162:163]
	v_fmac_f64_e32 v[2:3], s[4:5], v[152:153]
	;; [unrolled: 1-line block ×5, first 2 shown]
	v_add_f64 v[150:151], v[172:173], -v[192:193]
	v_add_f64 v[166:167], v[192:193], v[172:173]
	v_accvgpr_read_b32 v173, a25
	v_add_f64 v[0:1], v[0:1], v[200:201]
	v_add_f64 v[2:3], v[2:3], v[158:159]
	;; [unrolled: 1-line block ×4, first 2 shown]
	v_fmac_f64_e32 v[180:181], s[2:3], v[162:163]
	v_fmac_f64_e32 v[170:171], s[2:3], v[162:163]
	v_accvgpr_read_b32 v172, a24
	v_add_f64 v[152:153], v[184:185], v[0:1]
	v_add_f64 v[154:155], v[2:3], -v[180:181]
	v_add_f64 v[148:149], v[198:199], v[168:169]
	v_add_f64 v[156:157], v[160:161], -v[176:177]
	v_add_f64 v[158:159], v[170:171], v[164:165]
	v_add_f64 v[160:161], v[176:177], v[160:161]
	v_add_f64 v[162:163], v[164:165], -v[170:171]
	v_add_f64 v[164:165], v[168:169], -v[198:199]
	;; [unrolled: 1-line block ×3, first 2 shown]
	v_add_f64 v[170:171], v[180:181], v[2:3]
	v_add_f64 v[0:1], v[172:173], v[188:189]
	;; [unrolled: 1-line block ×3, first 2 shown]
	v_add_f64 v[172:173], v[172:173], -v[188:189]
	v_add_f64 v[176:177], v[182:183], -v[194:195]
	v_accvgpr_read_b32 v185, a23
	v_accvgpr_read_b32 v189, a29
	;; [unrolled: 1-line block ×8, first 2 shown]
	ds_write_b128 v196, v[16:19]
	ds_write_b128 v196, v[24:27] offset:784
	ds_write_b128 v196, v[20:23] offset:1568
	;; [unrolled: 1-line block ×13, first 2 shown]
	v_accvgpr_read_b32 v16, a6
	v_add_f64 v[180:181], v[184:185], v[188:189]
	v_add_f64 v[182:183], v[178:179], v[190:191]
	v_add_f64 v[184:185], v[184:185], -v[188:189]
	v_add_f64 v[178:179], v[178:179], -v[190:191]
	v_add_f64 v[188:189], v[192:193], v[194:195]
	v_add_f64 v[190:191], v[174:175], v[186:187]
	v_add_f64 v[192:193], v[194:195], -v[192:193]
	v_add_f64 v[174:175], v[186:187], -v[174:175]
	v_lshlrev_b32_e32 v16, 4, v16
	v_add_f64 v[186:187], v[180:181], v[0:1]
	v_add_f64 v[194:195], v[182:183], v[2:3]
	v_add_f64 v[198:199], v[180:181], -v[0:1]
	v_add_f64 v[200:201], v[182:183], -v[2:3]
	;; [unrolled: 1-line block ×4, first 2 shown]
	v_add_f64 v[0:1], v[192:193], v[184:185]
	v_add_f64 v[2:3], v[174:175], v[178:179]
	buffer_store_dword v16, off, s[40:43], 0 offset:1820 ; 4-byte Folded Spill
	ds_write_b128 v16, v[44:47] offset:10976
	ds_write_b128 v16, v[80:83] offset:11760
	;; [unrolled: 1-line block ×7, first 2 shown]
	v_accvgpr_read_b32 v16, a7
	v_add_f64 v[206:207], v[192:193], -v[184:185]
	v_add_f64 v[208:209], v[174:175], -v[178:179]
	;; [unrolled: 1-line block ×6, first 2 shown]
	v_add_f64 v[172:173], v[0:1], v[172:173]
	v_add_f64 v[176:177], v[2:3], v[176:177]
	v_accvgpr_read_b32 v0, a0
	v_lshlrev_b32_e32 v16, 4, v16
	v_add_f64 v[186:187], v[188:189], v[186:187]
	v_accvgpr_read_b32 v1, a1
	buffer_store_dword v16, off, s[40:43], 0 offset:1816 ; 4-byte Folded Spill
	ds_write_b128 v16, v[12:15] offset:16464
	ds_write_b128 v16, v[104:107] offset:17248
	;; [unrolled: 1-line block ×7, first 2 shown]
	v_accvgpr_read_b32 v12, a16
	v_add_f64 v[180:181], v[188:189], -v[180:181]
	v_add_f64 v[188:189], v[190:191], v[194:195]
	v_accvgpr_read_b32 v2, a2
	v_accvgpr_read_b32 v3, a3
	v_add_f64 v[0:1], v[0:1], v[186:187]
	v_lshlrev_b32_e32 v12, 4, v12
	v_add_f64 v[182:183], v[190:191], -v[182:183]
	v_add_f64 v[2:3], v[2:3], v[188:189]
	v_pk_mov_b32 v[214:215], v[0:1], v[0:1] op_sel:[0,1]
	buffer_store_dword v12, off, s[40:43], 0 offset:1048 ; 4-byte Folded Spill
	ds_write_b128 v12, v[8:11] offset:21952
	ds_write_b128 v12, v[128:131] offset:22736
	;; [unrolled: 1-line block ×7, first 2 shown]
	v_accvgpr_read_b32 v8, a17
	v_mul_f64 v[190:191], v[202:203], s[22:23]
	v_mul_f64 v[194:195], v[204:205], s[22:23]
	v_mul_f64 v[202:203], v[180:181], s[4:5]
	v_mul_f64 v[204:205], v[182:183], s[4:5]
	v_mul_f64 v[206:207], v[206:207], s[24:25]
	v_mul_f64 v[208:209], v[208:209], s[24:25]
	v_mul_f64 v[210:211], v[184:185], s[6:7]
	v_mul_f64 v[212:213], v[178:179], s[6:7]
	v_fmac_f64_e32 v[214:215], s[20:21], v[186:187]
	v_pk_mov_b32 v[186:187], v[2:3], v[2:3] op_sel:[0,1]
	v_lshlrev_b32_e32 v8, 4, v8
	v_fmac_f64_e32 v[186:187], s[20:21], v[188:189]
	v_fma_f64 v[188:189], v[198:199], s[8:9], -v[202:203]
	v_fma_f64 v[202:203], v[200:201], s[8:9], -v[204:205]
	;; [unrolled: 1-line block ×3, first 2 shown]
	v_fmac_f64_e32 v[190:191], s[4:5], v[180:181]
	v_fma_f64 v[180:181], v[200:201], s[16:17], -v[194:195]
	v_fmac_f64_e32 v[194:195], s[4:5], v[182:183]
	v_fma_f64 v[200:201], v[184:185], s[26:27], -v[206:207]
	;; [unrolled: 2-line block ×3, first 2 shown]
	v_fmac_f64_e32 v[208:209], s[14:15], v[174:175]
	v_fmac_f64_e32 v[210:211], s[18:19], v[192:193]
	v_fmac_f64_e32 v[212:213], s[18:19], v[174:175]
	buffer_store_dword v8, off, s[40:43], 0 offset:784 ; 4-byte Folded Spill
	ds_write_b128 v8, v[4:7] offset:27440
	ds_write_b128 v8, v[152:155] offset:28224
	;; [unrolled: 1-line block ×7, first 2 shown]
	v_accvgpr_read_b32 v4, a5
	v_add_f64 v[192:193], v[190:191], v[214:215]
	v_add_f64 v[194:195], v[194:195], v[186:187]
	;; [unrolled: 1-line block ×6, first 2 shown]
	v_fmac_f64_e32 v[206:207], s[2:3], v[172:173]
	v_fmac_f64_e32 v[208:209], s[2:3], v[176:177]
	;; [unrolled: 1-line block ×6, first 2 shown]
	v_lshlrev_b32_e32 v4, 4, v4
	v_add_f64 v[176:177], v[208:209], v[192:193]
	v_add_f64 v[178:179], v[194:195], -v[206:207]
	v_add_f64 v[172:173], v[212:213], v[198:199]
	v_add_f64 v[174:175], v[202:203], -v[210:211]
	v_add_f64 v[180:181], v[188:189], -v[184:185]
	v_add_f64 v[182:183], v[200:201], v[190:191]
	v_add_f64 v[184:185], v[184:185], v[188:189]
	v_add_f64 v[186:187], v[190:191], -v[200:201]
	v_add_f64 v[188:189], v[198:199], -v[212:213]
	v_add_f64 v[190:191], v[210:211], v[202:203]
	v_add_f64 v[192:193], v[192:193], -v[208:209]
	v_add_f64 v[194:195], v[206:207], v[194:195]
	buffer_store_dword v4, off, s[40:43], 0 offset:772 ; 4-byte Folded Spill
	ds_write_b128 v4, v[0:3] offset:32928
	ds_write_b128 v4, v[176:179] offset:33712
	;; [unrolled: 1-line block ×7, first 2 shown]
	v_add_co_u32_e32 v0, vcc, s10, v222
	v_addc_co_u32_e32 v1, vcc, 0, v223, vcc
	v_add_co_u32_e32 v6, vcc, s33, v222
	v_addc_co_u32_e32 v7, vcc, 0, v223, vcc
	s_waitcnt lgkmcnt(0)
	; wave barrier
	s_waitcnt lgkmcnt(0)
	ds_read_b128 v[236:239], v196
	ds_read_b128 v[192:195], v196 offset:5488
	ds_read_b128 v[188:191], v196 offset:10976
	ds_read_b128 v[184:187], v196 offset:16464
	ds_read_b128 v[180:183], v196 offset:21952
	ds_read_b128 v[176:179], v196 offset:27440
	ds_read_b128 v[172:175], v196 offset:32928
	ds_read_b128 v[200:203], v196 offset:784
	ds_read_b128 v[168:171], v196 offset:6272
	ds_read_b128 v[164:167], v196 offset:11760
	ds_read_b128 v[160:163], v196 offset:17248
	ds_read_b128 v[156:159], v196 offset:22736
	ds_read_b128 v[152:155], v196 offset:28224
	ds_read_b128 v[148:151], v196 offset:33712
	ds_read_b128 v[204:207], v196 offset:1568
	ds_read_b128 v[144:147], v196 offset:7056
	ds_read_b128 v[140:143], v196 offset:12544
	ds_read_b128 v[136:139], v196 offset:18032
	ds_read_b128 v[132:135], v196 offset:23520
	ds_read_b128 v[128:131], v196 offset:29008
	ds_read_b128 v[124:127], v196 offset:34496
	ds_read_b128 v[224:227], v196 offset:2352
	ds_read_b128 v[120:123], v196 offset:7840
	ds_read_b128 v[116:119], v196 offset:13328
	ds_read_b128 v[112:115], v196 offset:18816
	ds_read_b128 v[108:111], v196 offset:24304
	ds_read_b128 v[104:107], v196 offset:29792
	ds_read_b128 v[100:103], v196 offset:35280
	ds_read_b128 v[228:231], v196 offset:3136
	ds_read_b128 v[96:99], v196 offset:8624
	ds_read_b128 v[92:95], v196 offset:14112
	ds_read_b128 v[88:91], v196 offset:19600
	ds_read_b128 v[84:87], v196 offset:25088
	ds_read_b128 v[80:83], v196 offset:30576
	ds_read_b128 v[76:79], v196 offset:36064
	ds_read_b128 v[244:247], v196 offset:3920
	ds_read_b128 v[72:75], v196 offset:9408
	ds_read_b128 v[68:71], v196 offset:14896
	ds_read_b128 v[64:67], v196 offset:20384
	ds_read_b128 v[60:63], v196 offset:25872
	ds_read_b128 v[56:59], v196 offset:31360
	ds_read_b128 v[52:55], v196 offset:36848
	ds_read_b128 a[0:3], v196 offset:4704
	ds_read_b128 v[44:47], v196 offset:10192
	ds_read_b128 v[40:43], v196 offset:15680
	ds_read_b128 v[36:39], v196 offset:21168
	ds_read_b128 v[32:35], v196 offset:26656
	ds_read_b128 v[24:27], v196 offset:32144
	ds_read_b128 v[20:23], v196 offset:37632
	global_load_dwordx4 v[28:31], v[6:7], off offset:1280
	global_load_dwordx4 v[8:11], v[0:1], off offset:48
	;; [unrolled: 1-line block ×4, first 2 shown]
	s_waitcnt vmcnt(3)
	buffer_store_dword v28, off, s[40:43], 0 offset:860 ; 4-byte Folded Spill
	s_nop 0
	buffer_store_dword v29, off, s[40:43], 0 offset:864 ; 4-byte Folded Spill
	buffer_store_dword v30, off, s[40:43], 0 offset:868 ; 4-byte Folded Spill
	;; [unrolled: 1-line block ×3, first 2 shown]
	s_waitcnt vmcnt(4)
	buffer_store_dword v2, off, s[40:43], 0 offset:896 ; 4-byte Folded Spill
	s_nop 0
	buffer_store_dword v3, off, s[40:43], 0 offset:900 ; 4-byte Folded Spill
	buffer_store_dword v4, off, s[40:43], 0 offset:904 ; 4-byte Folded Spill
	buffer_store_dword v5, off, s[40:43], 0 offset:908 ; 4-byte Folded Spill
	buffer_store_dword v14, off, s[40:43], 0 offset:912 ; 4-byte Folded Spill
	s_nop 0
	buffer_store_dword v15, off, s[40:43], 0 offset:916 ; 4-byte Folded Spill
	buffer_store_dword v16, off, s[40:43], 0 offset:920 ; 4-byte Folded Spill
	buffer_store_dword v17, off, s[40:43], 0 offset:924 ; 4-byte Folded Spill
	;; [unrolled: 5-line block ×3, first 2 shown]
	s_waitcnt lgkmcnt(14)
	v_mul_f64 v[0:1], v[194:195], v[30:31]
	v_fma_f64 v[12:13], v[192:193], v[28:29], -v[0:1]
	v_mul_f64 v[212:213], v[192:193], v[30:31]
	v_mul_f64 v[0:1], v[190:191], v[4:5]
	v_fma_f64 v[214:215], v[188:189], v[2:3], -v[0:1]
	v_mul_f64 v[0:1], v[186:187], v[16:17]
	;; [unrolled: 3-line block ×3, first 2 shown]
	v_fmac_f64_e32 v[216:217], v[190:191], v[2:3]
	v_mul_f64 v[4:5], v[184:185], v[16:17]
	v_fma_f64 v[184:185], v[180:181], v[8:9], -v[0:1]
	v_mul_f64 v[2:3], v[180:181], v[10:11]
	v_add_co_u32_e32 v0, vcc, s11, v222
	v_fmac_f64_e32 v[4:5], v[186:187], v[14:15]
	v_fmac_f64_e32 v[2:3], v[182:183], v[8:9]
	v_addc_co_u32_e32 v1, vcc, 0, v223, vcc
	global_load_dwordx4 v[14:17], v[6:7], off offset:1344
	s_nop 0
	global_load_dwordx4 v[6:9], v[0:1], off offset:16
	v_fmac_f64_e32 v[212:213], v[194:195], v[28:29]
	s_waitcnt vmcnt(1)
	v_mul_f64 v[0:1], v[178:179], v[16:17]
	v_fma_f64 v[48:49], v[176:177], v[14:15], -v[0:1]
	s_waitcnt vmcnt(0)
	v_mul_f64 v[0:1], v[174:175], v[8:9]
	buffer_store_dword v14, off, s[40:43], 0 offset:1008 ; 4-byte Folded Spill
	s_nop 0
	buffer_store_dword v15, off, s[40:43], 0 offset:1012 ; 4-byte Folded Spill
	buffer_store_dword v16, off, s[40:43], 0 offset:1016 ; 4-byte Folded Spill
	;; [unrolled: 1-line block ×3, first 2 shown]
	v_fma_f64 v[28:29], v[172:173], v[6:7], -v[0:1]
	buffer_store_dword v6, off, s[40:43], 0 offset:1072 ; 4-byte Folded Spill
	s_nop 0
	buffer_store_dword v7, off, s[40:43], 0 offset:1076 ; 4-byte Folded Spill
	buffer_store_dword v8, off, s[40:43], 0 offset:1080 ; 4-byte Folded Spill
	;; [unrolled: 1-line block ×3, first 2 shown]
	v_mul_f64 v[210:211], v[176:177], v[16:17]
	v_fmac_f64_e32 v[210:211], v[178:179], v[14:15]
	v_mul_f64 v[0:1], v[172:173], v[8:9]
	v_fmac_f64_e32 v[0:1], v[174:175], v[6:7]
	v_accvgpr_read_b32 v6, a4
	v_mad_u64_u32 v[190:191], s[36:37], v6, s35, v[220:221]
	v_add_co_u32_e32 v6, vcc, s10, v190
	v_addc_co_u32_e32 v7, vcc, 0, v191, vcc
	v_add_co_u32_e32 v8, vcc, s33, v190
	v_addc_co_u32_e32 v9, vcc, 0, v191, vcc
	global_load_dwordx4 v[186:189], v[8:9], off offset:1280
	global_load_dwordx4 v[16:19], v[6:7], off offset:48
	;; [unrolled: 1-line block ×4, first 2 shown]
	s_waitcnt vmcnt(3)
	buffer_store_dword v186, off, s[40:43], 0 offset:1280 ; 4-byte Folded Spill
	s_nop 0
	buffer_store_dword v187, off, s[40:43], 0 offset:1284 ; 4-byte Folded Spill
	buffer_store_dword v188, off, s[40:43], 0 offset:1288 ; 4-byte Folded Spill
	;; [unrolled: 1-line block ×3, first 2 shown]
	s_waitcnt vmcnt(4)
	buffer_store_dword v178, off, s[40:43], 0 offset:1296 ; 4-byte Folded Spill
	s_nop 0
	buffer_store_dword v179, off, s[40:43], 0 offset:1300 ; 4-byte Folded Spill
	buffer_store_dword v180, off, s[40:43], 0 offset:1304 ; 4-byte Folded Spill
	buffer_store_dword v181, off, s[40:43], 0 offset:1308 ; 4-byte Folded Spill
	buffer_store_dword v174, off, s[40:43], 0 offset:1312 ; 4-byte Folded Spill
	s_nop 0
	buffer_store_dword v175, off, s[40:43], 0 offset:1316 ; 4-byte Folded Spill
	buffer_store_dword v176, off, s[40:43], 0 offset:1320 ; 4-byte Folded Spill
	buffer_store_dword v177, off, s[40:43], 0 offset:1324 ; 4-byte Folded Spill
	;; [unrolled: 5-line block ×3, first 2 shown]
	s_movk_i32 s10, 0x2760
	v_mul_f64 v[6:7], v[170:171], v[188:189]
	v_fma_f64 v[172:173], v[168:169], v[186:187], -v[6:7]
	v_mul_f64 v[250:251], v[168:169], v[188:189]
	v_mul_f64 v[6:7], v[166:167], v[180:181]
	v_fma_f64 v[168:169], v[164:165], v[178:179], -v[6:7]
	v_mul_f64 v[6:7], v[162:163], v[176:177]
	;; [unrolled: 3-line block ×4, first 2 shown]
	v_add_co_u32_e32 v6, vcc, s11, v190
	v_fmac_f64_e32 v[254:255], v[162:163], v[174:175]
	v_fmac_f64_e32 v[10:11], v[158:159], v[16:17]
	v_addc_co_u32_e32 v7, vcc, 0, v191, vcc
	global_load_dwordx4 v[174:177], v[8:9], off offset:1344
	global_load_dwordx4 v[16:19], v[6:7], off offset:16
	v_fmac_f64_e32 v[250:251], v[170:171], v[186:187]
	v_fmac_f64_e32 v[14:15], v[166:167], v[178:179]
	s_waitcnt vmcnt(1)
	v_mul_f64 v[6:7], v[154:155], v[176:177]
	v_fma_f64 v[156:157], v[152:153], v[174:175], -v[6:7]
	buffer_store_dword v174, off, s[40:43], 0 offset:1440 ; 4-byte Folded Spill
	s_nop 0
	buffer_store_dword v175, off, s[40:43], 0 offset:1444 ; 4-byte Folded Spill
	buffer_store_dword v176, off, s[40:43], 0 offset:1448 ; 4-byte Folded Spill
	;; [unrolled: 1-line block ×3, first 2 shown]
	s_waitcnt vmcnt(4)
	v_mul_f64 v[6:7], v[150:151], v[18:19]
	v_mul_f64 v[8:9], v[152:153], v[176:177]
	v_fma_f64 v[152:153], v[148:149], v[16:17], -v[6:7]
	buffer_store_dword v16, off, s[40:43], 0 offset:1456 ; 4-byte Folded Spill
	s_nop 0
	buffer_store_dword v17, off, s[40:43], 0 offset:1460 ; 4-byte Folded Spill
	buffer_store_dword v18, off, s[40:43], 0 offset:1464 ; 4-byte Folded Spill
	;; [unrolled: 1-line block ×3, first 2 shown]
	v_fmac_f64_e32 v[8:9], v[154:155], v[174:175]
	v_mul_f64 v[6:7], v[148:149], v[18:19]
	v_fmac_f64_e32 v[6:7], v[150:151], v[16:17]
	v_add_co_u32_e32 v16, vcc, s10, v190
	v_addc_co_u32_e32 v17, vcc, 0, v191, vcc
	v_add_co_u32_e32 v30, vcc, s31, v190
	v_addc_co_u32_e32 v31, vcc, 0, v191, vcc
	global_load_dwordx4 v[192:195], v[30:31], off offset:1888
	global_load_dwordx4 v[174:177], v[16:17], off offset:48
	global_load_dwordx4 v[178:181], v[16:17], off offset:32
	global_load_dwordx4 v[186:189], v[16:17], off offset:16
	s_waitcnt vmcnt(3)
	buffer_store_dword v192, off, s[40:43], 0 offset:1572 ; 4-byte Folded Spill
	s_nop 0
	buffer_store_dword v193, off, s[40:43], 0 offset:1576 ; 4-byte Folded Spill
	buffer_store_dword v194, off, s[40:43], 0 offset:1580 ; 4-byte Folded Spill
	;; [unrolled: 1-line block ×3, first 2 shown]
	s_waitcnt vmcnt(4)
	buffer_store_dword v186, off, s[40:43], 0 offset:1620 ; 4-byte Folded Spill
	s_nop 0
	buffer_store_dword v187, off, s[40:43], 0 offset:1624 ; 4-byte Folded Spill
	buffer_store_dword v188, off, s[40:43], 0 offset:1628 ; 4-byte Folded Spill
	buffer_store_dword v189, off, s[40:43], 0 offset:1632 ; 4-byte Folded Spill
	buffer_store_dword v178, off, s[40:43], 0 offset:1636 ; 4-byte Folded Spill
	s_nop 0
	buffer_store_dword v179, off, s[40:43], 0 offset:1640 ; 4-byte Folded Spill
	buffer_store_dword v180, off, s[40:43], 0 offset:1644 ; 4-byte Folded Spill
	buffer_store_dword v181, off, s[40:43], 0 offset:1648 ; 4-byte Folded Spill
	buffer_store_dword v174, off, s[40:43], 0 offset:1652 ; 4-byte Folded Spill
	s_nop 0
	buffer_store_dword v175, off, s[40:43], 0 offset:1656 ; 4-byte Folded Spill
	buffer_store_dword v176, off, s[40:43], 0 offset:1660 ; 4-byte Folded Spill
	buffer_store_dword v177, off, s[40:43], 0 offset:1664 ; 4-byte Folded Spill
	s_movk_i32 s10, 0x27a0
	v_mul_f64 v[16:17], v[146:147], v[194:195]
	v_fma_f64 v[148:149], v[144:145], v[192:193], -v[16:17]
	v_mul_f64 v[18:19], v[144:145], v[194:195]
	v_mul_f64 v[16:17], v[142:143], v[188:189]
	v_fma_f64 v[144:145], v[140:141], v[186:187], -v[16:17]
	v_mul_f64 v[16:17], v[138:139], v[180:181]
	;; [unrolled: 3-line block ×4, first 2 shown]
	v_add_co_u32_e32 v16, vcc, s10, v190
	v_fmac_f64_e32 v[50:51], v[138:139], v[178:179]
	v_fmac_f64_e32 v[234:235], v[134:135], v[174:175]
	v_addc_co_u32_e32 v17, vcc, 0, v191, vcc
	global_load_dwordx4 v[178:181], v[30:31], off offset:1952
	global_load_dwordx4 v[174:177], v[16:17], off offset:16
	s_movk_i32 s10, 0x39c0
	v_add_co_u32_e32 v30, vcc, s10, v190
	v_addc_co_u32_e32 v31, vcc, 0, v191, vcc
	v_fmac_f64_e32 v[18:19], v[146:147], v[192:193]
	v_fmac_f64_e32 v[222:223], v[142:143], v[186:187]
	s_movk_i32 s10, 0x3a00
	s_waitcnt vmcnt(1)
	v_mul_f64 v[16:17], v[130:131], v[180:181]
	v_fma_f64 v[132:133], v[128:129], v[178:179], -v[16:17]
	buffer_store_dword v178, off, s[40:43], 0 offset:1732 ; 4-byte Folded Spill
	s_nop 0
	buffer_store_dword v179, off, s[40:43], 0 offset:1736 ; 4-byte Folded Spill
	buffer_store_dword v180, off, s[40:43], 0 offset:1740 ; 4-byte Folded Spill
	;; [unrolled: 1-line block ×3, first 2 shown]
	s_waitcnt vmcnt(4)
	v_mul_f64 v[16:17], v[126:127], v[176:177]
	v_mul_f64 v[242:243], v[128:129], v[180:181]
	v_fma_f64 v[128:129], v[124:125], v[174:175], -v[16:17]
	buffer_store_dword v174, off, s[40:43], 0 offset:1768 ; 4-byte Folded Spill
	s_nop 0
	buffer_store_dword v175, off, s[40:43], 0 offset:1772 ; 4-byte Folded Spill
	buffer_store_dword v176, off, s[40:43], 0 offset:1776 ; 4-byte Folded Spill
	;; [unrolled: 1-line block ×3, first 2 shown]
	v_fmac_f64_e32 v[242:243], v[130:131], v[178:179]
	v_mul_f64 v[16:17], v[124:125], v[176:177]
	v_fmac_f64_e32 v[16:17], v[126:127], v[174:175]
	v_add_co_u32_e32 v126, vcc, s34, v190
	v_addc_co_u32_e32 v127, vcc, 0, v191, vcc
	global_load_dwordx4 v[192:195], v[126:127], off offset:2496
	global_load_dwordx4 v[174:177], v[30:31], off offset:48
	;; [unrolled: 1-line block ×4, first 2 shown]
	s_waitcnt vmcnt(3)
	v_mul_f64 v[30:31], v[122:123], v[194:195]
	v_fma_f64 v[124:125], v[120:121], v[192:193], -v[30:31]
	v_mul_f64 v[30:31], v[120:121], v[194:195]
	s_waitcnt vmcnt(0)
	v_mul_f64 v[120:121], v[118:119], v[188:189]
	v_fmac_f64_e32 v[30:31], v[122:123], v[192:193]
	v_fma_f64 v[120:121], v[116:117], v[186:187], -v[120:121]
	v_mul_f64 v[122:123], v[116:117], v[188:189]
	v_mul_f64 v[116:117], v[114:115], v[180:181]
	v_fma_f64 v[116:117], v[112:113], v[178:179], -v[116:117]
	v_mul_f64 v[112:113], v[112:113], v[180:181]
	v_fmac_f64_e32 v[112:113], v[114:115], v[178:179]
	v_mul_f64 v[114:115], v[110:111], v[176:177]
	v_fma_f64 v[114:115], v[108:109], v[174:175], -v[114:115]
	v_mul_f64 v[108:109], v[108:109], v[176:177]
	v_accvgpr_write_b32 a219, v181
	v_fmac_f64_e32 v[108:109], v[110:111], v[174:175]
	v_accvgpr_write_b32 a215, v177
	v_add_co_u32_e32 v110, vcc, s10, v190
	v_accvgpr_write_b32 a218, v180
	v_accvgpr_write_b32 a217, v179
	;; [unrolled: 1-line block ×6, first 2 shown]
	v_addc_co_u32_e32 v111, vcc, 0, v191, vcc
	global_load_dwordx4 v[178:181], v[126:127], off offset:2560
	global_load_dwordx4 v[174:177], v[110:111], off offset:16
	s_movk_i32 s10, 0x4c20
	v_fmac_f64_e32 v[122:123], v[118:119], v[186:187]
	v_accvgpr_write_b32 a239, v195
	v_accvgpr_write_b32 a227, v189
	;; [unrolled: 1-line block ×8, first 2 shown]
	s_waitcnt vmcnt(1)
	v_mul_f64 v[110:111], v[106:107], v[180:181]
	v_fma_f64 v[110:111], v[104:105], v[178:179], -v[110:111]
	v_mul_f64 v[104:105], v[104:105], v[180:181]
	v_fmac_f64_e32 v[104:105], v[106:107], v[178:179]
	s_waitcnt vmcnt(0)
	v_mul_f64 v[106:107], v[102:103], v[176:177]
	v_fma_f64 v[106:107], v[100:101], v[174:175], -v[106:107]
	v_mul_f64 v[100:101], v[100:101], v[176:177]
	v_fmac_f64_e32 v[100:101], v[102:103], v[174:175]
	v_add_co_u32_e32 v102, vcc, s10, v190
	v_addc_co_u32_e32 v103, vcc, 0, v191, vcc
	v_add_co_u32_e32 v118, vcc, s29, v190
	v_accvgpr_write_b32 a197, v181
	v_accvgpr_write_b32 a193, v177
	v_addc_co_u32_e32 v119, vcc, 0, v191, vcc
	v_accvgpr_write_b32 a196, v180
	v_accvgpr_write_b32 a195, v179
	;; [unrolled: 1-line block ×6, first 2 shown]
	global_load_dwordx4 v[192:195], v[118:119], off offset:3104
	global_load_dwordx4 v[174:177], v[102:103], off offset:48
	global_load_dwordx4 v[178:181], v[102:103], off offset:32
	global_load_dwordx4 v[186:189], v[102:103], off offset:16
	s_movk_i32 s10, 0x4c60
	s_waitcnt vmcnt(3)
	v_mul_f64 v[102:103], v[98:99], v[194:195]
	v_fma_f64 v[232:233], v[96:97], v[192:193], -v[102:103]
	v_mul_f64 v[126:127], v[96:97], v[194:195]
	s_waitcnt vmcnt(0)
	v_mul_f64 v[96:97], v[94:95], v[188:189]
	v_accvgpr_write_b32 a146, v192
	v_fma_f64 v[220:221], v[92:93], v[186:187], -v[96:97]
	v_mul_f64 v[130:131], v[92:93], v[188:189]
	v_mul_f64 v[92:93], v[90:91], v[180:181]
	v_fmac_f64_e32 v[126:127], v[98:99], v[192:193]
	v_accvgpr_write_b32 a147, v193
	v_accvgpr_write_b32 a148, v194
	;; [unrolled: 1-line block ×4, first 2 shown]
	v_fma_f64 v[192:193], v[88:89], v[178:179], -v[92:93]
	v_mul_f64 v[134:135], v[88:89], v[180:181]
	v_mul_f64 v[88:89], v[86:87], v[176:177]
	v_accvgpr_write_b32 a143, v187
	v_accvgpr_write_b32 a144, v188
	;; [unrolled: 1-line block ×3, first 2 shown]
	v_fma_f64 v[188:189], v[84:85], v[174:175], -v[88:89]
	v_mul_f64 v[138:139], v[84:85], v[176:177]
	v_add_co_u32_e32 v84, vcc, s10, v190
	v_fmac_f64_e32 v[134:135], v[90:91], v[178:179]
	v_fmac_f64_e32 v[138:139], v[86:87], v[174:175]
	v_addc_co_u32_e32 v85, vcc, 0, v191, vcc
	global_load_dwordx4 v[90:93], v[118:119], off offset:3168
	global_load_dwordx4 v[86:89], v[84:85], off offset:16
	v_accvgpr_write_b32 a138, v178
	v_accvgpr_write_b32 a139, v179
	;; [unrolled: 1-line block ×5, first 2 shown]
	s_movk_i32 s10, 0x5e80
	v_accvgpr_write_b32 a135, v175
	v_accvgpr_write_b32 a136, v176
	;; [unrolled: 1-line block ×3, first 2 shown]
	v_fmac_f64_e32 v[130:131], v[94:95], v[186:187]
	s_waitcnt vmcnt(1)
	v_mul_f64 v[84:85], v[82:83], v[92:93]
	v_fma_f64 v[180:181], v[80:81], v[90:91], -v[84:85]
	v_mul_f64 v[142:143], v[80:81], v[92:93]
	s_waitcnt vmcnt(0)
	v_mul_f64 v[80:81], v[78:79], v[88:89]
	v_fma_f64 v[176:177], v[76:77], v[86:87], -v[80:81]
	v_mul_f64 v[146:147], v[76:77], v[88:89]
	v_add_co_u32_e32 v76, vcc, s10, v190
	v_addc_co_u32_e32 v77, vcc, 0, v191, vcc
	v_fmac_f64_e32 v[146:147], v[78:79], v[86:87]
	v_add_co_u32_e32 v78, vcc, s28, v190
	v_accvgpr_write_b32 a125, v93
	v_accvgpr_write_b32 a121, v89
	v_addc_co_u32_e32 v79, vcc, 0, v191, vcc
	v_fmac_f64_e32 v[142:143], v[82:83], v[90:91]
	v_accvgpr_write_b32 a124, v92
	v_accvgpr_write_b32 a123, v91
	;; [unrolled: 1-line block ×6, first 2 shown]
	global_load_dwordx4 v[92:95], v[78:79], off offset:3712
	global_load_dwordx4 v[80:83], v[76:77], off offset:48
	;; [unrolled: 1-line block ×4, first 2 shown]
	s_movk_i32 s10, 0x5ec0
	s_waitcnt vmcnt(3) lgkmcnt(12)
	v_mul_f64 v[76:77], v[74:75], v[94:95]
	v_fma_f64 v[76:77], v[72:73], v[92:93], -v[76:77]
	v_mul_f64 v[150:151], v[72:73], v[94:95]
	s_waitcnt vmcnt(0) lgkmcnt(11)
	v_mul_f64 v[72:73], v[70:71], v[90:91]
	v_fma_f64 v[72:73], v[68:69], v[88:89], -v[72:73]
	v_mul_f64 v[158:159], v[68:69], v[90:91]
	s_waitcnt lgkmcnt(10)
	v_mul_f64 v[68:69], v[66:67], v[86:87]
	v_fma_f64 v[68:69], v[64:65], v[84:85], -v[68:69]
	v_mul_f64 v[154:155], v[64:65], v[86:87]
	s_waitcnt lgkmcnt(9)
	v_mul_f64 v[64:65], v[62:63], v[82:83]
	v_accvgpr_write_b32 a4, v68
	v_fma_f64 v[252:253], v[60:61], v[80:81], -v[64:65]
	v_mul_f64 v[162:163], v[60:61], v[82:83]
	v_add_co_u32_e32 v60, vcc, s10, v190
	v_accvgpr_write_b32 a5, v69
	v_fmac_f64_e32 v[154:155], v[66:67], v[84:85]
	v_fmac_f64_e32 v[162:163], v[62:63], v[80:81]
	v_addc_co_u32_e32 v61, vcc, 0, v191, vcc
	global_load_dwordx4 v[66:69], v[78:79], off offset:3776
	global_load_dwordx4 v[62:65], v[60:61], off offset:16
	s_movk_i32 s10, 0x70e0
	v_fmac_f64_e32 v[158:159], v[70:71], v[88:89]
	v_accvgpr_write_b32 a34, v76
	v_accvgpr_write_b32 a35, v77
	;; [unrolled: 1-line block ×4, first 2 shown]
	v_fmac_f64_e32 v[150:151], v[74:75], v[92:93]
	v_accvgpr_write_b32 a89, v87
	v_accvgpr_write_b32 a66, v80
	;; [unrolled: 1-line block ×16, first 2 shown]
	s_waitcnt vmcnt(1) lgkmcnt(8)
	v_mul_f64 v[60:61], v[58:59], v[68:69]
	v_fma_f64 v[248:249], v[56:57], v[66:67], -v[60:61]
	v_mul_f64 v[166:167], v[56:57], v[68:69]
	s_waitcnt vmcnt(0) lgkmcnt(7)
	v_mul_f64 v[56:57], v[54:55], v[64:65]
	v_fma_f64 v[240:241], v[52:53], v[62:63], -v[56:57]
	v_mul_f64 v[170:171], v[52:53], v[64:65]
	v_add_co_u32_e32 v52, vcc, s10, v190
	v_addc_co_u32_e32 v53, vcc, 0, v191, vcc
	v_fmac_f64_e32 v[170:171], v[54:55], v[62:63]
	v_add_co_u32_e32 v54, vcc, s30, v190
	v_accvgpr_write_b32 a60, v66
	v_accvgpr_write_b32 a56, v62
	v_addc_co_u32_e32 v55, vcc, 0, v191, vcc
	v_fmac_f64_e32 v[166:167], v[58:59], v[66:67]
	v_accvgpr_write_b32 a61, v67
	v_accvgpr_write_b32 a62, v68
	;; [unrolled: 1-line block ×6, first 2 shown]
	global_load_dwordx4 v[68:71], v[54:55], off offset:224
	global_load_dwordx4 v[56:59], v[52:53], off offset:48
	;; [unrolled: 1-line block ×4, first 2 shown]
	s_movk_i32 s10, 0x7120
	s_waitcnt vmcnt(3) lgkmcnt(5)
	v_mul_f64 v[52:53], v[46:47], v[70:71]
	v_fma_f64 v[208:209], v[44:45], v[68:69], -v[52:53]
	v_mul_f64 v[178:179], v[44:45], v[70:71]
	s_waitcnt vmcnt(0) lgkmcnt(4)
	v_mul_f64 v[44:45], v[42:43], v[66:67]
	v_fma_f64 v[44:45], v[40:41], v[64:65], -v[44:45]
	v_mul_f64 v[182:183], v[40:41], v[66:67]
	s_waitcnt lgkmcnt(3)
	v_mul_f64 v[40:41], v[38:39], v[62:63]
	v_fma_f64 v[198:199], v[36:37], v[60:61], -v[40:41]
	v_mul_f64 v[174:175], v[36:37], v[62:63]
	s_waitcnt lgkmcnt(2)
	v_mul_f64 v[36:37], v[34:35], v[58:59]
	v_fma_f64 v[36:37], v[32:33], v[56:57], -v[36:37]
	v_accvgpr_write_b32 a10, v36
	v_mul_f64 v[186:187], v[32:33], v[58:59]
	v_add_co_u32_e32 v32, vcc, s10, v190
	v_fmac_f64_e32 v[174:175], v[38:39], v[60:61]
	v_accvgpr_write_b32 a11, v37
	v_fmac_f64_e32 v[186:187], v[34:35], v[56:57]
	v_addc_co_u32_e32 v33, vcc, 0, v191, vcc
	global_load_dwordx4 v[38:41], v[54:55], off offset:288
	global_load_dwordx4 v[34:37], v[32:33], off offset:16
	v_fmac_f64_e32 v[178:179], v[46:47], v[68:69]
	v_accvgpr_write_b32 a12, v44
	v_fmac_f64_e32 v[182:183], v[42:43], v[64:65]
	v_accvgpr_write_b32 a13, v45
	v_accvgpr_write_b32 a22, v56
	;; [unrolled: 1-line block ×17, first 2 shown]
	s_waitcnt vmcnt(1) lgkmcnt(1)
	v_mul_f64 v[32:33], v[26:27], v[40:41]
	v_fma_f64 v[32:33], v[24:25], v[38:39], -v[32:33]
	v_mul_f64 v[190:191], v[24:25], v[40:41]
	s_waitcnt vmcnt(0) lgkmcnt(0)
	v_mul_f64 v[24:25], v[22:23], v[36:37]
	v_fma_f64 v[24:25], v[20:21], v[34:35], -v[24:25]
	v_accvgpr_write_b32 a6, v24
	v_accvgpr_write_b32 a7, v25
	v_mul_f64 v[194:195], v[20:21], v[36:37]
	v_accvgpr_write_b32 a14, v34
	v_add_f64 v[20:21], v[12:13], v[28:29]
	v_add_f64 v[24:25], v[214:215], v[48:49]
	v_fmac_f64_e32 v[190:191], v[26:27], v[38:39]
	v_accvgpr_write_b32 a18, v38
	v_fmac_f64_e32 v[194:195], v[22:23], v[34:35]
	v_accvgpr_write_b32 a15, v35
	v_accvgpr_write_b32 a16, v36
	;; [unrolled: 1-line block ×3, first 2 shown]
	v_add_f64 v[22:23], v[212:213], v[0:1]
	v_add_f64 v[26:27], v[216:217], v[210:211]
	;; [unrolled: 1-line block ×4, first 2 shown]
	v_add_f64 v[2:3], v[2:3], -v[4:5]
	v_add_f64 v[4:5], v[24:25], v[20:21]
	v_accvgpr_write_b32 a8, v32
	v_accvgpr_write_b32 a19, v39
	;; [unrolled: 1-line block ×4, first 2 shown]
	v_add_f64 v[12:13], v[12:13], -v[28:29]
	v_add_f64 v[28:29], v[214:215], -v[48:49]
	;; [unrolled: 1-line block ×3, first 2 shown]
	v_add_f64 v[40:41], v[26:27], v[22:23]
	v_add_f64 v[4:5], v[34:35], v[4:5]
	v_accvgpr_write_b32 a9, v33
	v_add_f64 v[0:1], v[212:213], -v[0:1]
	v_add_f64 v[32:33], v[216:217], -v[210:211]
	;; [unrolled: 1-line block ×5, first 2 shown]
	v_add_f64 v[46:47], v[38:39], v[28:29]
	v_add_f64 v[34:35], v[36:37], v[40:41]
	;; [unrolled: 1-line block ×3, first 2 shown]
	v_add_f64 v[44:45], v[26:27], -v[22:23]
	v_add_f64 v[22:23], v[22:23], -v[36:37]
	;; [unrolled: 1-line block ×3, first 2 shown]
	v_add_f64 v[48:49], v[2:3], v[32:33]
	v_add_f64 v[52:53], v[38:39], -v[28:29]
	v_add_f64 v[54:55], v[2:3], -v[32:33]
	;; [unrolled: 1-line block ×5, first 2 shown]
	v_add_f64 v[12:13], v[46:47], v[12:13]
	v_add_f64 v[214:215], v[238:239], v[34:35]
	v_pk_mov_b32 v[46:47], v[212:213], v[212:213] op_sel:[0,1]
	v_add_f64 v[2:3], v[0:1], -v[2:3]
	v_add_f64 v[0:1], v[48:49], v[0:1]
	v_mul_f64 v[20:21], v[20:21], s[22:23]
	v_mul_f64 v[22:23], v[22:23], s[22:23]
	;; [unrolled: 1-line block ×8, first 2 shown]
	v_fmac_f64_e32 v[46:47], s[20:21], v[4:5]
	v_pk_mov_b32 v[4:5], v[214:215], v[214:215] op_sel:[0,1]
	v_fmac_f64_e32 v[4:5], s[20:21], v[34:35]
	v_fma_f64 v[34:35], v[42:43], s[8:9], -v[36:37]
	v_fma_f64 v[36:37], v[44:45], s[8:9], -v[40:41]
	;; [unrolled: 1-line block ×3, first 2 shown]
	v_fmac_f64_e32 v[20:21], s[4:5], v[24:25]
	v_fma_f64 v[24:25], v[44:45], s[16:17], -v[22:23]
	v_fmac_f64_e32 v[22:23], s[4:5], v[26:27]
	v_fma_f64 v[26:27], v[28:29], s[26:27], -v[48:49]
	;; [unrolled: 2-line block ×3, first 2 shown]
	v_fmac_f64_e32 v[52:53], s[14:15], v[2:3]
	v_fmac_f64_e32 v[54:55], s[18:19], v[38:39]
	;; [unrolled: 1-line block ×3, first 2 shown]
	v_add_f64 v[2:3], v[20:21], v[46:47]
	v_add_f64 v[22:23], v[22:23], v[4:5]
	;; [unrolled: 1-line block ×6, first 2 shown]
	v_fmac_f64_e32 v[48:49], s[2:3], v[12:13]
	v_fmac_f64_e32 v[52:53], s[2:3], v[0:1]
	;; [unrolled: 1-line block ×6, first 2 shown]
	v_add_f64 v[0:1], v[172:173], v[152:153]
	v_add_f64 v[12:13], v[168:169], v[156:157]
	;; [unrolled: 1-line block ×3, first 2 shown]
	v_add_f64 v[42:43], v[22:23], -v[48:49]
	v_add_f64 v[44:45], v[56:57], v[58:59]
	v_add_f64 v[46:47], v[4:5], -v[54:55]
	v_add_f64 v[36:37], v[20:21], -v[28:29]
	v_add_f64 v[38:39], v[26:27], v[34:35]
	v_add_f64 v[32:33], v[28:29], v[20:21]
	v_add_f64 v[34:35], v[34:35], -v[26:27]
	v_add_f64 v[24:25], v[58:59], -v[56:57]
	v_add_f64 v[26:27], v[54:55], v[4:5]
	v_add_f64 v[20:21], v[2:3], -v[52:53]
	v_add_f64 v[22:23], v[48:49], v[22:23]
	v_add_f64 v[2:3], v[250:251], v[6:7]
	;; [unrolled: 1-line block ×3, first 2 shown]
	v_add_f64 v[48:49], v[168:169], -v[156:157]
	v_add_f64 v[8:9], v[14:15], -v[8:9]
	v_add_f64 v[14:15], v[164:165], v[160:161]
	v_add_f64 v[54:55], v[160:161], -v[164:165]
	v_add_f64 v[56:57], v[12:13], v[0:1]
	;; [unrolled: 2-line block ×4, first 2 shown]
	v_add_f64 v[60:61], v[12:13], -v[0:1]
	v_add_f64 v[64:65], v[0:1], -v[14:15]
	;; [unrolled: 1-line block ×3, first 2 shown]
	v_add_f64 v[0:1], v[54:55], v[48:49]
	v_add_f64 v[14:15], v[14:15], v[56:57]
	v_add_f64 v[6:7], v[250:251], -v[6:7]
	v_add_f64 v[62:63], v[28:29], -v[2:3]
	;; [unrolled: 1-line block ×4, first 2 shown]
	v_add_f64 v[2:3], v[10:11], v[8:9]
	v_add_f64 v[68:69], v[54:55], -v[48:49]
	v_add_f64 v[54:55], v[4:5], -v[54:55]
	;; [unrolled: 1-line block ×3, first 2 shown]
	v_add_f64 v[52:53], v[52:53], v[58:59]
	v_add_f64 v[4:5], v[0:1], v[4:5]
	;; [unrolled: 1-line block ×3, first 2 shown]
	v_add_f64 v[70:71], v[10:11], -v[8:9]
	v_add_f64 v[10:11], v[6:7], -v[10:11]
	;; [unrolled: 1-line block ×3, first 2 shown]
	v_add_f64 v[6:7], v[2:3], v[6:7]
	v_add_f64 v[2:3], v[202:203], v[52:53]
	v_pk_mov_b32 v[76:77], v[0:1], v[0:1] op_sel:[0,1]
	v_mul_f64 v[56:57], v[64:65], s[22:23]
	v_mul_f64 v[58:59], v[66:67], s[22:23]
	;; [unrolled: 1-line block ×5, first 2 shown]
	v_fmac_f64_e32 v[76:77], s[20:21], v[14:15]
	v_pk_mov_b32 v[14:15], v[2:3], v[2:3] op_sel:[0,1]
	v_mul_f64 v[66:67], v[28:29], s[4:5]
	v_mul_f64 v[74:75], v[68:69], s[24:25]
	;; [unrolled: 1-line block ×3, first 2 shown]
	v_fmac_f64_e32 v[14:15], s[20:21], v[52:53]
	v_fma_f64 v[52:53], v[60:61], s[8:9], -v[64:65]
	v_fma_f64 v[60:61], v[60:61], s[16:17], -v[56:57]
	v_fmac_f64_e32 v[56:57], s[4:5], v[12:13]
	v_fma_f64 v[12:13], v[62:63], s[16:17], -v[58:59]
	v_fmac_f64_e32 v[70:71], s[18:19], v[54:55]
	;; [unrolled: 2-line block ×5, first 2 shown]
	v_fmac_f64_e32 v[68:69], s[18:19], v[10:11]
	v_add_f64 v[12:13], v[12:13], v[14:15]
	v_fmac_f64_e32 v[70:71], s[2:3], v[4:5]
	v_add_f64 v[10:11], v[56:57], v[76:77]
	v_add_f64 v[66:67], v[52:53], v[76:77]
	;; [unrolled: 1-line block ×4, first 2 shown]
	v_fmac_f64_e32 v[74:75], s[2:3], v[4:5]
	v_fmac_f64_e32 v[72:73], s[2:3], v[6:7]
	;; [unrolled: 1-line block ×5, first 2 shown]
	v_add_f64 v[54:55], v[12:13], -v[70:71]
	v_add_f64 v[70:71], v[70:71], v[12:13]
	v_add_f64 v[4:5], v[148:149], v[128:129]
	;; [unrolled: 1-line block ×6, first 2 shown]
	v_add_f64 v[60:61], v[66:67], -v[8:9]
	v_add_f64 v[62:63], v[28:29], v[78:79]
	v_add_f64 v[64:65], v[8:9], v[66:67]
	v_add_f64 v[66:67], v[78:79], -v[28:29]
	v_add_f64 v[68:69], v[76:77], -v[68:69]
	;; [unrolled: 1-line block ×3, first 2 shown]
	v_add_f64 v[6:7], v[18:19], v[16:17]
	v_add_f64 v[10:11], v[18:19], -v[16:17]
	v_add_f64 v[14:15], v[222:223], v[242:243]
	v_add_f64 v[16:17], v[144:145], -v[132:133]
	;; [unrolled: 2-line block ×5, first 2 shown]
	v_add_f64 v[18:19], v[222:223], -v[242:243]
	v_add_f64 v[48:49], v[50:51], v[234:235]
	v_add_f64 v[50:51], v[234:235], -v[50:51]
	v_add_f64 v[80:81], v[14:15], v[6:7]
	v_add_f64 v[82:83], v[12:13], -v[4:5]
	v_add_f64 v[86:87], v[4:5], -v[28:29]
	v_add_f64 v[12:13], v[28:29], -v[12:13]
	v_add_f64 v[4:5], v[76:77], v[16:17]
	v_add_f64 v[28:29], v[28:29], v[78:79]
	v_add_f64 v[84:85], v[14:15], -v[6:7]
	v_add_f64 v[88:89], v[6:7], -v[48:49]
	;; [unrolled: 1-line block ×3, first 2 shown]
	v_add_f64 v[6:7], v[50:51], v[18:19]
	v_add_f64 v[90:91], v[76:77], -v[16:17]
	v_add_f64 v[76:77], v[8:9], -v[76:77]
	;; [unrolled: 1-line block ×3, first 2 shown]
	v_add_f64 v[48:49], v[48:49], v[80:81]
	v_add_f64 v[8:9], v[4:5], v[8:9]
	;; [unrolled: 1-line block ×3, first 2 shown]
	v_add_f64 v[92:93], v[50:51], -v[18:19]
	v_add_f64 v[50:51], v[10:11], -v[50:51]
	;; [unrolled: 1-line block ×3, first 2 shown]
	v_add_f64 v[10:11], v[6:7], v[10:11]
	v_add_f64 v[6:7], v[206:207], v[48:49]
	v_mul_f64 v[98:99], v[90:91], s[24:25]
	v_pk_mov_b32 v[90:91], v[4:5], v[4:5] op_sel:[0,1]
	v_mul_f64 v[78:79], v[86:87], s[22:23]
	v_mul_f64 v[80:81], v[88:89], s[22:23]
	;; [unrolled: 1-line block ×4, first 2 shown]
	v_fmac_f64_e32 v[90:91], s[20:21], v[28:29]
	v_pk_mov_b32 v[28:29], v[6:7], v[6:7] op_sel:[0,1]
	v_mul_f64 v[88:89], v[14:15], s[4:5]
	v_mul_f64 v[94:95], v[16:17], s[6:7]
	v_fmac_f64_e32 v[28:29], s[20:21], v[48:49]
	v_fma_f64 v[48:49], v[82:83], s[8:9], -v[86:87]
	v_fma_f64 v[82:83], v[82:83], s[16:17], -v[78:79]
	v_fmac_f64_e32 v[78:79], s[4:5], v[12:13]
	v_fma_f64 v[12:13], v[84:85], s[16:17], -v[80:81]
	v_fmac_f64_e32 v[80:81], s[4:5], v[14:15]
	v_fma_f64 v[14:15], v[16:17], s[26:27], -v[98:99]
	v_fma_f64 v[16:17], v[18:19], s[26:27], -v[96:97]
	v_mul_f64 v[92:93], v[18:19], s[6:7]
	v_fma_f64 v[86:87], v[84:85], s[8:9], -v[88:89]
	v_fmac_f64_e32 v[98:99], s[14:15], v[76:77]
	v_fmac_f64_e32 v[96:97], s[14:15], v[50:51]
	v_fmac_f64_e32 v[94:95], s[18:19], v[76:77]
	v_add_f64 v[48:49], v[48:49], v[90:91]
	v_fmac_f64_e32 v[16:17], s[2:3], v[10:11]
	v_fmac_f64_e32 v[92:93], s[18:19], v[50:51]
	v_add_f64 v[18:19], v[78:79], v[90:91]
	v_add_f64 v[102:103], v[86:87], v[28:29]
	v_fmac_f64_e32 v[98:99], s[2:3], v[8:9]
	v_fmac_f64_e32 v[96:97], s[2:3], v[10:11]
	;; [unrolled: 1-line block ×4, first 2 shown]
	v_add_f64 v[84:85], v[48:49], -v[16:17]
	v_add_f64 v[88:89], v[16:17], v[48:49]
	v_add_f64 v[8:9], v[124:125], v[106:107]
	;; [unrolled: 1-line block ×6, first 2 shown]
	v_fmac_f64_e32 v[92:93], s[2:3], v[10:11]
	v_add_f64 v[80:81], v[96:97], v[18:19]
	v_add_f64 v[86:87], v[14:15], v[102:103]
	v_add_f64 v[90:91], v[102:103], -v[14:15]
	v_add_f64 v[96:97], v[18:19], -v[96:97]
	v_add_f64 v[10:11], v[30:31], v[100:101]
	v_add_f64 v[14:15], v[30:31], -v[100:101]
	v_add_f64 v[18:19], v[122:123], v[104:105]
	v_add_f64 v[28:29], v[120:121], -v[110:111]
	v_add_f64 v[30:31], v[122:123], -v[104:105]
	v_add_f64 v[48:49], v[116:117], v[114:115]
	v_add_f64 v[100:101], v[114:115], -v[116:117]
	v_add_f64 v[104:105], v[16:17], v[8:9]
	v_add_f64 v[82:83], v[50:51], -v[98:99]
	v_add_f64 v[78:79], v[12:13], -v[94:95]
	v_add_f64 v[94:95], v[94:95], v[12:13]
	v_add_f64 v[98:99], v[98:99], v[50:51]
	v_add_f64 v[12:13], v[124:125], -v[106:107]
	v_add_f64 v[50:51], v[112:113], v[108:109]
	v_add_f64 v[102:103], v[108:109], -v[112:113]
	;; [unrolled: 2-line block ×3, first 2 shown]
	v_add_f64 v[8:9], v[8:9], -v[48:49]
	v_add_f64 v[16:17], v[48:49], -v[16:17]
	v_add_f64 v[112:113], v[100:101], v[28:29]
	v_add_f64 v[48:49], v[48:49], v[104:105]
	v_add_f64 v[110:111], v[18:19], -v[10:11]
	v_add_f64 v[10:11], v[10:11], -v[50:51]
	;; [unrolled: 1-line block ×3, first 2 shown]
	v_add_f64 v[114:115], v[102:103], v[30:31]
	v_add_f64 v[116:117], v[100:101], -v[28:29]
	v_add_f64 v[100:101], v[12:13], -v[100:101]
	;; [unrolled: 1-line block ×3, first 2 shown]
	v_add_f64 v[50:51], v[50:51], v[106:107]
	v_add_f64 v[104:105], v[112:113], v[12:13]
	;; [unrolled: 1-line block ×4, first 2 shown]
	v_add_f64 v[92:93], v[118:119], -v[92:93]
	v_add_f64 v[118:119], v[102:103], -v[30:31]
	;; [unrolled: 1-line block ×4, first 2 shown]
	v_add_f64 v[106:107], v[114:115], v[14:15]
	v_add_f64 v[14:15], v[226:227], v[50:51]
	v_pk_mov_b32 v[124:125], v[12:13], v[12:13] op_sel:[0,1]
	v_mul_f64 v[8:9], v[8:9], s[22:23]
	v_mul_f64 v[10:11], v[10:11], s[22:23]
	;; [unrolled: 1-line block ×5, first 2 shown]
	v_fmac_f64_e32 v[124:125], s[20:21], v[48:49]
	v_pk_mov_b32 v[48:49], v[14:15], v[14:15] op_sel:[0,1]
	v_mul_f64 v[114:115], v[18:19], s[4:5]
	v_mul_f64 v[118:119], v[28:29], s[6:7]
	v_mul_f64 v[116:117], v[30:31], s[6:7]
	v_fmac_f64_e32 v[48:49], s[20:21], v[50:51]
	v_fma_f64 v[50:51], v[108:109], s[8:9], -v[112:113]
	v_fma_f64 v[108:109], v[108:109], s[16:17], -v[8:9]
	v_fmac_f64_e32 v[8:9], s[4:5], v[16:17]
	v_fma_f64 v[16:17], v[110:111], s[16:17], -v[10:11]
	v_fmac_f64_e32 v[10:11], s[4:5], v[18:19]
	v_fma_f64 v[18:19], v[28:29], s[26:27], -v[122:123]
	v_fma_f64 v[28:29], v[30:31], s[26:27], -v[120:121]
	v_fmac_f64_e32 v[120:121], s[14:15], v[102:103]
	v_fma_f64 v[112:113], v[110:111], s[8:9], -v[114:115]
	v_fmac_f64_e32 v[122:123], s[14:15], v[100:101]
	v_fmac_f64_e32 v[118:119], s[18:19], v[100:101]
	;; [unrolled: 1-line block ×3, first 2 shown]
	v_add_f64 v[8:9], v[8:9], v[124:125]
	v_add_f64 v[30:31], v[50:51], v[124:125]
	v_fmac_f64_e32 v[120:121], s[2:3], v[106:107]
	v_fmac_f64_e32 v[28:29], s[2:3], v[106:107]
	v_add_f64 v[10:11], v[10:11], v[48:49]
	v_add_f64 v[50:51], v[112:113], v[48:49]
	;; [unrolled: 1-line block ×3, first 2 shown]
	v_fmac_f64_e32 v[122:123], s[2:3], v[104:105]
	v_fmac_f64_e32 v[18:19], s[2:3], v[104:105]
	;; [unrolled: 1-line block ×4, first 2 shown]
	v_add_f64 v[104:105], v[120:121], v[8:9]
	v_add_f64 v[108:109], v[30:31], -v[28:29]
	v_add_f64 v[112:113], v[28:29], v[30:31]
	v_add_f64 v[120:121], v[8:9], -v[120:121]
	v_add_f64 v[8:9], v[232:233], v[176:177]
	v_add_f64 v[28:29], v[220:221], v[180:181]
	;; [unrolled: 1-line block ×3, first 2 shown]
	v_add_f64 v[106:107], v[10:11], -v[122:123]
	v_add_f64 v[100:101], v[116:117], v[124:125]
	v_add_f64 v[116:117], v[124:125], -v[116:117]
	v_add_f64 v[122:123], v[122:123], v[10:11]
	v_add_f64 v[10:11], v[126:127], v[146:147]
	;; [unrolled: 1-line block ×3, first 2 shown]
	v_add_f64 v[48:49], v[220:221], -v[180:181]
	v_add_f64 v[124:125], v[192:193], v[188:189]
	v_add_f64 v[128:129], v[188:189], -v[192:193]
	v_add_f64 v[132:133], v[28:29], v[8:9]
	;; [unrolled: 2-line block ×4, first 2 shown]
	v_add_f64 v[16:17], v[232:233], -v[176:177]
	v_add_f64 v[18:19], v[126:127], -v[146:147]
	;; [unrolled: 1-line block ×3, first 2 shown]
	v_add_f64 v[126:127], v[134:135], v[138:139]
	v_add_f64 v[130:131], v[138:139], -v[134:135]
	v_add_f64 v[134:135], v[30:31], v[10:11]
	v_add_f64 v[136:137], v[28:29], -v[8:9]
	v_add_f64 v[8:9], v[8:9], -v[124:125]
	;; [unrolled: 1-line block ×3, first 2 shown]
	v_add_f64 v[140:141], v[128:129], v[48:49]
	v_add_f64 v[124:125], v[124:125], v[132:133]
	v_add_f64 v[138:139], v[30:31], -v[10:11]
	v_add_f64 v[10:11], v[10:11], -v[126:127]
	;; [unrolled: 1-line block ×3, first 2 shown]
	v_add_f64 v[142:143], v[130:131], v[50:51]
	v_add_f64 v[144:145], v[128:129], -v[48:49]
	v_add_f64 v[128:129], v[16:17], -v[128:129]
	v_add_f64 v[48:49], v[48:49], -v[16:17]
	v_add_f64 v[126:127], v[126:127], v[134:135]
	v_add_f64 v[132:133], v[140:141], v[16:17]
	;; [unrolled: 1-line block ×3, first 2 shown]
	v_add_f64 v[146:147], v[130:131], -v[50:51]
	v_add_f64 v[130:131], v[18:19], -v[130:131]
	;; [unrolled: 1-line block ×3, first 2 shown]
	v_add_f64 v[134:135], v[142:143], v[18:19]
	v_add_f64 v[18:19], v[230:231], v[126:127]
	v_pk_mov_b32 v[156:157], v[16:17], v[16:17] op_sel:[0,1]
	v_mul_f64 v[8:9], v[8:9], s[22:23]
	v_mul_f64 v[10:11], v[10:11], s[22:23]
	;; [unrolled: 1-line block ×6, first 2 shown]
	v_fmac_f64_e32 v[156:157], s[20:21], v[124:125]
	v_pk_mov_b32 v[124:125], v[18:19], v[18:19] op_sel:[0,1]
	v_mul_f64 v[142:143], v[30:31], s[4:5]
	v_fmac_f64_e32 v[124:125], s[20:21], v[126:127]
	v_fma_f64 v[126:127], v[136:137], s[8:9], -v[140:141]
	v_fma_f64 v[136:137], v[136:137], s[16:17], -v[8:9]
	v_fmac_f64_e32 v[8:9], s[4:5], v[28:29]
	v_fma_f64 v[28:29], v[138:139], s[16:17], -v[10:11]
	v_fmac_f64_e32 v[10:11], s[4:5], v[30:31]
	;; [unrolled: 2-line block ×3, first 2 shown]
	v_fmac_f64_e32 v[146:147], s[18:19], v[128:129]
	v_mul_f64 v[152:153], v[50:51], s[6:7]
	v_fma_f64 v[140:141], v[138:139], s[8:9], -v[142:143]
	v_fma_f64 v[48:49], v[50:51], s[26:27], -v[144:145]
	v_add_f64 v[10:11], v[10:11], v[124:125]
	v_add_f64 v[28:29], v[28:29], v[124:125]
	v_fmac_f64_e32 v[148:149], s[2:3], v[132:133]
	v_fmac_f64_e32 v[146:147], s[2:3], v[132:133]
	;; [unrolled: 1-line block ×4, first 2 shown]
	v_add_f64 v[50:51], v[126:127], v[156:157]
	v_add_f64 v[138:139], v[140:141], v[124:125]
	v_fmac_f64_e32 v[30:31], s[2:3], v[132:133]
	v_fmac_f64_e32 v[48:49], s[2:3], v[134:135]
	v_add_f64 v[130:131], v[10:11], -v[148:149]
	v_add_f64 v[126:127], v[28:29], -v[146:147]
	v_add_f64 v[142:143], v[146:147], v[28:29]
	v_add_f64 v[146:147], v[148:149], v[10:11]
	v_accvgpr_read_b32 v28, a34
	v_accvgpr_read_b32 v149, a31
	v_add_f64 v[8:9], v[8:9], v[156:157]
	v_add_f64 v[140:141], v[136:137], v[156:157]
	v_fmac_f64_e32 v[144:145], s[2:3], v[134:135]
	v_fmac_f64_e32 v[152:153], s[2:3], v[134:135]
	v_add_f64 v[132:133], v[50:51], -v[48:49]
	v_add_f64 v[134:135], v[30:31], v[138:139]
	v_add_f64 v[136:137], v[48:49], v[50:51]
	v_add_f64 v[138:139], v[138:139], -v[30:31]
	v_accvgpr_read_b32 v29, a35
	v_add_f64 v[10:11], v[150:151], v[170:171]
	v_add_f64 v[30:31], v[150:151], -v[170:171]
	v_accvgpr_read_b32 v148, a30
	;; [unrolled: 3-line block ×3, first 2 shown]
	v_add_f64 v[128:129], v[144:145], v[8:9]
	v_add_f64 v[144:145], v[8:9], -v[144:145]
	v_add_f64 v[8:9], v[28:29], v[240:241]
	v_add_f64 v[48:49], v[148:149], v[248:249]
	v_accvgpr_read_b32 v158, a4
	v_add_f64 v[124:125], v[152:153], v[140:141]
	v_add_f64 v[140:141], v[140:141], -v[152:153]
	v_add_f64 v[148:149], v[148:149], -v[248:249]
	v_add_f64 v[152:153], v[158:159], v[252:253]
	v_add_f64 v[158:159], v[252:253], -v[158:159]
	v_add_f64 v[160:161], v[48:49], v[8:9]
	;; [unrolled: 2-line block ×4, first 2 shown]
	v_add_f64 v[164:165], v[48:49], -v[8:9]
	v_add_f64 v[8:9], v[8:9], -v[152:153]
	;; [unrolled: 1-line block ×3, first 2 shown]
	v_add_f64 v[168:169], v[158:159], v[148:149]
	v_add_f64 v[152:153], v[152:153], v[160:161]
	v_add_f64 v[166:167], v[50:51], -v[10:11]
	v_add_f64 v[10:11], v[10:11], -v[156:157]
	;; [unrolled: 1-line block ×3, first 2 shown]
	v_add_f64 v[170:171], v[154:155], v[150:151]
	v_add_f64 v[172:173], v[158:159], -v[148:149]
	v_add_f64 v[158:159], v[28:29], -v[158:159]
	v_add_f64 v[148:149], v[148:149], -v[28:29]
	v_add_f64 v[156:157], v[156:157], v[162:163]
	v_add_f64 v[160:161], v[168:169], v[28:29]
	;; [unrolled: 1-line block ×3, first 2 shown]
	v_add_f64 v[176:177], v[154:155], -v[150:151]
	v_add_f64 v[154:155], v[30:31], -v[154:155]
	;; [unrolled: 1-line block ×3, first 2 shown]
	v_add_f64 v[162:163], v[170:171], v[30:31]
	v_add_f64 v[30:31], v[246:247], v[156:157]
	v_pk_mov_b32 v[188:189], v[28:29], v[28:29] op_sel:[0,1]
	v_mul_f64 v[8:9], v[8:9], s[22:23]
	v_mul_f64 v[10:11], v[10:11], s[22:23]
	;; [unrolled: 1-line block ×7, first 2 shown]
	v_fmac_f64_e32 v[188:189], s[20:21], v[152:153]
	v_pk_mov_b32 v[152:153], v[30:31], v[30:31] op_sel:[0,1]
	v_mul_f64 v[184:185], v[150:151], s[6:7]
	v_fmac_f64_e32 v[152:153], s[20:21], v[156:157]
	v_fma_f64 v[156:157], v[164:165], s[8:9], -v[168:169]
	v_fma_f64 v[168:169], v[166:167], s[8:9], -v[170:171]
	v_fma_f64 v[164:165], v[164:165], s[16:17], -v[8:9]
	v_fmac_f64_e32 v[8:9], s[4:5], v[48:49]
	v_fma_f64 v[48:49], v[166:167], s[16:17], -v[10:11]
	v_fmac_f64_e32 v[10:11], s[4:5], v[50:51]
	v_fma_f64 v[50:51], v[148:149], s[26:27], -v[172:173]
	;; [unrolled: 2-line block ×3, first 2 shown]
	v_fmac_f64_e32 v[180:181], s[18:19], v[158:159]
	v_fmac_f64_e32 v[176:177], s[14:15], v[154:155]
	;; [unrolled: 1-line block ×3, first 2 shown]
	v_add_f64 v[10:11], v[10:11], v[152:153]
	v_add_f64 v[170:171], v[156:157], v[188:189]
	;; [unrolled: 1-line block ×4, first 2 shown]
	v_fmac_f64_e32 v[172:173], s[2:3], v[160:161]
	v_fmac_f64_e32 v[50:51], s[2:3], v[160:161]
	;; [unrolled: 1-line block ×4, first 2 shown]
	v_add_f64 v[8:9], v[8:9], v[188:189]
	v_add_f64 v[164:165], v[164:165], v[188:189]
	v_fmac_f64_e32 v[176:177], s[2:3], v[162:163]
	v_fmac_f64_e32 v[184:185], s[2:3], v[162:163]
	v_add_f64 v[154:155], v[10:11], -v[172:173]
	v_add_f64 v[150:151], v[48:49], -v[180:181]
	;; [unrolled: 1-line block ×3, first 2 shown]
	v_add_f64 v[158:159], v[50:51], v[168:169]
	v_add_f64 v[160:161], v[166:167], v[170:171]
	v_add_f64 v[162:163], v[168:169], -v[50:51]
	v_add_f64 v[166:167], v[180:181], v[48:49]
	v_add_f64 v[170:171], v[172:173], v[10:11]
	v_accvgpr_read_b32 v49, a7
	v_add_f64 v[10:11], v[178:179], v[194:195]
	v_add_f64 v[50:51], v[178:179], -v[194:195]
	v_accvgpr_read_b32 v179, a13
	v_accvgpr_read_b32 v181, a9
	;; [unrolled: 1-line block ×7, first 2 shown]
	v_add_f64 v[152:153], v[176:177], v[8:9]
	v_add_f64 v[148:149], v[184:185], v[164:165]
	v_add_f64 v[164:165], v[164:165], -v[184:185]
	v_add_f64 v[168:169], v[8:9], -v[176:177]
	v_add_f64 v[8:9], v[208:209], v[48:49]
	v_add_f64 v[172:173], v[178:179], v[180:181]
	;; [unrolled: 1-line block ×3, first 2 shown]
	v_add_f64 v[178:179], v[178:179], -v[180:181]
	v_add_f64 v[180:181], v[182:183], -v[190:191]
	v_add_f64 v[182:183], v[198:199], v[188:189]
	v_add_f64 v[184:185], v[174:175], v[186:187]
	v_add_f64 v[188:189], v[188:189], -v[198:199]
	v_add_f64 v[174:175], v[186:187], -v[174:175]
	;; [unrolled: 1-line block ×3, first 2 shown]
	v_add_f64 v[186:187], v[172:173], v[8:9]
	v_add_f64 v[190:191], v[176:177], v[10:11]
	;; [unrolled: 1-line block ×4, first 2 shown]
	v_add_f64 v[192:193], v[172:173], -v[8:9]
	v_add_f64 v[194:195], v[176:177], -v[10:11]
	;; [unrolled: 1-line block ×12, first 2 shown]
	v_add_f64 v[182:183], v[182:183], v[186:187]
	v_add_f64 v[184:185], v[184:185], v[190:191]
	;; [unrolled: 1-line block ×4, first 2 shown]
	v_accvgpr_read_b32 v51, a3
	v_accvgpr_read_b32 v49, a1
	;; [unrolled: 1-line block ×4, first 2 shown]
	v_add_f64 v[48:49], v[48:49], v[182:183]
	v_add_f64 v[50:51], v[50:51], v[184:185]
	v_pk_mov_b32 v[210:211], v[48:49], v[48:49] op_sel:[0,1]
	v_mul_f64 v[8:9], v[8:9], s[22:23]
	v_mul_f64 v[10:11], v[10:11], s[22:23]
	;; [unrolled: 1-line block ×8, first 2 shown]
	v_fmac_f64_e32 v[210:211], s[20:21], v[182:183]
	v_pk_mov_b32 v[182:183], v[50:51], v[50:51] op_sel:[0,1]
	v_fmac_f64_e32 v[182:183], s[20:21], v[184:185]
	v_fma_f64 v[184:185], v[192:193], s[8:9], -v[198:199]
	v_fma_f64 v[198:199], v[194:195], s[8:9], -v[200:201]
	;; [unrolled: 1-line block ×3, first 2 shown]
	v_fmac_f64_e32 v[8:9], s[4:5], v[172:173]
	v_fma_f64 v[172:173], v[194:195], s[16:17], -v[10:11]
	v_fmac_f64_e32 v[10:11], s[4:5], v[176:177]
	v_fma_f64 v[194:195], v[178:179], s[26:27], -v[202:203]
	;; [unrolled: 2-line block ×3, first 2 shown]
	v_fmac_f64_e32 v[204:205], s[14:15], v[174:175]
	v_fmac_f64_e32 v[206:207], s[18:19], v[188:189]
	;; [unrolled: 1-line block ×3, first 2 shown]
	v_add_f64 v[8:9], v[8:9], v[210:211]
	v_add_f64 v[10:11], v[10:11], v[182:183]
	;; [unrolled: 1-line block ×6, first 2 shown]
	v_fmac_f64_e32 v[202:203], s[2:3], v[186:187]
	v_fmac_f64_e32 v[204:205], s[2:3], v[190:191]
	v_fmac_f64_e32 v[194:195], s[2:3], v[186:187]
	v_fmac_f64_e32 v[200:201], s[2:3], v[190:191]
	v_fmac_f64_e32 v[206:207], s[2:3], v[186:187]
	v_fmac_f64_e32 v[208:209], s[2:3], v[190:191]
	v_add_f64 v[176:177], v[204:205], v[8:9]
	v_add_f64 v[178:179], v[10:11], -v[202:203]
	v_add_f64 v[172:173], v[208:209], v[192:193]
	v_add_f64 v[174:175], v[198:199], -v[206:207]
	v_add_f64 v[180:181], v[184:185], -v[200:201]
	v_add_f64 v[182:183], v[194:195], v[188:189]
	v_add_f64 v[184:185], v[200:201], v[184:185]
	v_add_f64 v[186:187], v[188:189], -v[194:195]
	v_add_f64 v[188:189], v[192:193], -v[208:209]
	v_add_f64 v[190:191], v[206:207], v[198:199]
	v_add_f64 v[8:9], v[8:9], -v[204:205]
	v_add_f64 v[10:11], v[202:203], v[10:11]
	ds_write_b128 v196, v[212:215]
	ds_write_b128 v196, v[40:43] offset:5488
	ds_write_b128 v196, v[44:47] offset:10976
	;; [unrolled: 1-line block ×48, first 2 shown]
	v_accvgpr_read_b32 v4, a198
	v_accvgpr_read_b32 v5, a199
	s_waitcnt lgkmcnt(0)
	; wave barrier
	s_waitcnt lgkmcnt(0)
	global_load_dwordx4 v[4:7], v[4:5], off offset:1552
	ds_read_b128 v[0:3], v196
	s_mov_b32 s3, 0x9610
	v_accvgpr_read_b32 v30, a65
	v_add_co_u32_e32 v14, vcc, s3, v30
	v_accvgpr_read_b32 v31, a32
	v_addc_co_u32_e32 v15, vcc, 0, v31, vcc
	s_mov_b32 s3, 0xa000
	s_mov_b32 s25, 0x3fe11646
	s_waitcnt vmcnt(0) lgkmcnt(0)
	v_mul_f64 v[8:9], v[2:3], v[6:7]
	v_mul_f64 v[10:11], v[0:1], v[6:7]
	v_add_co_u32_e32 v6, vcc, s3, v30
	v_fma_f64 v[8:9], v[0:1], v[4:5], -v[8:9]
	v_fmac_f64_e32 v[10:11], v[2:3], v[4:5]
	v_addc_co_u32_e32 v7, vcc, 0, v31, vcc
	ds_write_b128 v196, v[8:11]
	global_load_dwordx4 v[8:11], v[6:7], off offset:2944
	ds_read_b128 v[0:3], v196 offset:5488
	s_mov_b32 s3, 0xc000
	s_waitcnt vmcnt(0) lgkmcnt(0)
	v_mul_f64 v[4:5], v[2:3], v[10:11]
	v_fma_f64 v[16:17], v[0:1], v[8:9], -v[4:5]
	v_add_co_u32_e32 v4, vcc, s3, v30
	v_mul_f64 v[18:19], v[0:1], v[10:11]
	v_addc_co_u32_e32 v5, vcc, 0, v31, vcc
	v_fmac_f64_e32 v[18:19], v[2:3], v[8:9]
	global_load_dwordx4 v[8:11], v[4:5], off offset:240
	ds_read_b128 v[0:3], v196 offset:10976
	ds_write_b128 v196, v[16:19] offset:5488
	s_mov_b32 s3, 0xd000
	s_waitcnt vmcnt(0) lgkmcnt(1)
	v_mul_f64 v[12:13], v[2:3], v[10:11]
	v_mul_f64 v[18:19], v[0:1], v[10:11]
	v_fma_f64 v[16:17], v[0:1], v[8:9], -v[12:13]
	v_fmac_f64_e32 v[18:19], v[2:3], v[8:9]
	v_add_co_u32_e32 v8, vcc, s3, v30
	v_addc_co_u32_e32 v9, vcc, 0, v31, vcc
	global_load_dwordx4 v[10:13], v[8:9], off offset:1632
	ds_read_b128 v[0:3], v196 offset:16464
	ds_write_b128 v196, v[16:19] offset:10976
	s_mov_b32 s3, 0xe000
	s_waitcnt vmcnt(0) lgkmcnt(1)
	v_mul_f64 v[16:17], v[2:3], v[12:13]
	v_mul_f64 v[18:19], v[0:1], v[12:13]
	v_fma_f64 v[16:17], v[0:1], v[10:11], -v[16:17]
	v_fmac_f64_e32 v[18:19], v[2:3], v[10:11]
	v_add_co_u32_e32 v10, vcc, s3, v30
	v_addc_co_u32_e32 v11, vcc, 0, v31, vcc
	ds_write_b128 v196, v[16:19] offset:16464
	global_load_dwordx4 v[16:19], v[10:11], off offset:3024
	ds_read_b128 v[0:3], v196 offset:21952
	s_mov_b32 s3, 0x10000
	s_waitcnt vmcnt(0) lgkmcnt(0)
	v_mul_f64 v[12:13], v[2:3], v[18:19]
	v_mul_f64 v[22:23], v[0:1], v[18:19]
	v_fma_f64 v[20:21], v[0:1], v[16:17], -v[12:13]
	v_fmac_f64_e32 v[22:23], v[2:3], v[16:17]
	v_add_co_u32_e32 v16, vcc, s3, v30
	v_addc_co_u32_e32 v17, vcc, 0, v31, vcc
	ds_write_b128 v196, v[20:23] offset:21952
	global_load_dwordx4 v[18:21], v[16:17], off offset:320
	ds_read_b128 v[0:3], v196 offset:27440
	s_mov_b32 s3, 0x11000
	s_waitcnt vmcnt(0) lgkmcnt(0)
	v_mul_f64 v[12:13], v[2:3], v[20:21]
	v_fma_f64 v[22:23], v[0:1], v[18:19], -v[12:13]
	v_add_co_u32_e32 v12, vcc, s3, v30
	v_mul_f64 v[24:25], v[0:1], v[20:21]
	v_addc_co_u32_e32 v13, vcc, 0, v31, vcc
	v_fmac_f64_e32 v[24:25], v[2:3], v[18:19]
	global_load_dwordx4 v[18:21], v[12:13], off offset:1712
	ds_read_b128 v[0:3], v196 offset:32928
	ds_write_b128 v196, v[22:25] offset:27440
	s_mov_b32 s3, 0xb000
	s_waitcnt vmcnt(0) lgkmcnt(1)
	v_mul_f64 v[22:23], v[2:3], v[20:21]
	v_mul_f64 v[24:25], v[0:1], v[20:21]
	v_fma_f64 v[22:23], v[0:1], v[18:19], -v[22:23]
	v_fmac_f64_e32 v[24:25], v[2:3], v[18:19]
	global_load_dwordx4 v[18:21], v[14:15], off offset:784
	ds_read_b128 v[0:3], v196 offset:784
	ds_write_b128 v196, v[22:25] offset:32928
	s_waitcnt vmcnt(0) lgkmcnt(1)
	v_mul_f64 v[22:23], v[2:3], v[20:21]
	v_mul_f64 v[24:25], v[0:1], v[20:21]
	v_fma_f64 v[22:23], v[0:1], v[18:19], -v[22:23]
	v_fmac_f64_e32 v[24:25], v[2:3], v[18:19]
	global_load_dwordx4 v[18:21], v[6:7], off offset:3728
	ds_read_b128 v[0:3], v196 offset:6272
	ds_write_b128 v196, v[22:25] offset:784
	;; [unrolled: 8-line block ×8, first 2 shown]
	s_waitcnt vmcnt(0) lgkmcnt(1)
	v_mul_f64 v[22:23], v[2:3], v[20:21]
	v_fma_f64 v[22:23], v[0:1], v[18:19], -v[22:23]
	v_mul_f64 v[24:25], v[0:1], v[20:21]
	v_add_co_u32_e32 v0, vcc, s3, v30
	v_fmac_f64_e32 v[24:25], v[2:3], v[18:19]
	v_addc_co_u32_e32 v1, vcc, 0, v31, vcc
	ds_write_b128 v196, v[22:25] offset:1568
	global_load_dwordx4 v[22:25], v[0:1], off offset:416
	ds_read_b128 v[18:21], v196 offset:7056
	s_mov_b32 s3, 0xf000
	s_waitcnt vmcnt(0) lgkmcnt(0)
	v_mul_f64 v[2:3], v[20:21], v[24:25]
	v_mul_f64 v[28:29], v[18:19], v[24:25]
	v_fma_f64 v[26:27], v[18:19], v[22:23], -v[2:3]
	v_fmac_f64_e32 v[28:29], v[20:21], v[22:23]
	global_load_dwordx4 v[22:25], v[4:5], off offset:1808
	ds_read_b128 v[18:21], v196 offset:12544
	ds_write_b128 v196, v[26:29] offset:7056
	s_waitcnt vmcnt(0) lgkmcnt(1)
	v_mul_f64 v[2:3], v[20:21], v[24:25]
	v_mul_f64 v[28:29], v[18:19], v[24:25]
	v_fma_f64 v[26:27], v[18:19], v[22:23], -v[2:3]
	v_fmac_f64_e32 v[28:29], v[20:21], v[22:23]
	global_load_dwordx4 v[22:25], v[8:9], off offset:3200
	ds_read_b128 v[18:21], v196 offset:18032
	ds_write_b128 v196, v[26:29] offset:12544
	s_waitcnt vmcnt(0) lgkmcnt(1)
	v_mul_f64 v[2:3], v[20:21], v[24:25]
	v_fma_f64 v[26:27], v[18:19], v[22:23], -v[2:3]
	v_add_co_u32_e32 v2, vcc, s3, v30
	v_mul_f64 v[28:29], v[18:19], v[24:25]
	v_addc_co_u32_e32 v3, vcc, 0, v31, vcc
	v_fmac_f64_e32 v[28:29], v[20:21], v[22:23]
	global_load_dwordx4 v[22:25], v[2:3], off offset:496
	ds_read_b128 v[18:21], v196 offset:23520
	ds_write_b128 v196, v[26:29] offset:18032
	s_mov_b32 s3, 0x12000
	s_waitcnt vmcnt(0) lgkmcnt(1)
	v_mul_f64 v[26:27], v[20:21], v[24:25]
	v_mul_f64 v[28:29], v[18:19], v[24:25]
	v_fma_f64 v[26:27], v[18:19], v[22:23], -v[26:27]
	v_fmac_f64_e32 v[28:29], v[20:21], v[22:23]
	global_load_dwordx4 v[22:25], v[16:17], off offset:1888
	ds_read_b128 v[18:21], v196 offset:29008
	ds_write_b128 v196, v[26:29] offset:23520
	s_waitcnt vmcnt(0) lgkmcnt(1)
	v_mul_f64 v[26:27], v[20:21], v[24:25]
	v_mul_f64 v[28:29], v[18:19], v[24:25]
	v_fma_f64 v[26:27], v[18:19], v[22:23], -v[26:27]
	v_fmac_f64_e32 v[28:29], v[20:21], v[22:23]
	global_load_dwordx4 v[22:25], v[12:13], off offset:3280
	ds_read_b128 v[18:21], v196 offset:34496
	ds_write_b128 v196, v[26:29] offset:29008
	s_waitcnt vmcnt(0) lgkmcnt(1)
	v_mul_f64 v[26:27], v[20:21], v[24:25]
	v_mul_f64 v[28:29], v[18:19], v[24:25]
	v_fma_f64 v[26:27], v[18:19], v[22:23], -v[26:27]
	v_fmac_f64_e32 v[28:29], v[20:21], v[22:23]
	global_load_dwordx4 v[22:25], v[14:15], off offset:2352
	ds_read_b128 v[18:21], v196 offset:2352
	ds_write_b128 v196, v[26:29] offset:34496
	s_waitcnt vmcnt(0) lgkmcnt(1)
	v_mul_f64 v[26:27], v[20:21], v[24:25]
	v_mul_f64 v[28:29], v[18:19], v[24:25]
	v_fma_f64 v[26:27], v[18:19], v[22:23], -v[26:27]
	v_fmac_f64_e32 v[28:29], v[20:21], v[22:23]
	global_load_dwordx4 v[22:25], v[0:1], off offset:1200
	ds_read_b128 v[18:21], v196 offset:7840
	ds_write_b128 v196, v[26:29] offset:2352
	s_waitcnt vmcnt(0) lgkmcnt(1)
	v_mul_f64 v[26:27], v[20:21], v[24:25]
	v_mul_f64 v[28:29], v[18:19], v[24:25]
	v_fma_f64 v[26:27], v[18:19], v[22:23], -v[26:27]
	v_fmac_f64_e32 v[28:29], v[20:21], v[22:23]
	global_load_dwordx4 v[22:25], v[4:5], off offset:2592
	ds_read_b128 v[18:21], v196 offset:13328
	ds_write_b128 v196, v[26:29] offset:7840
	s_waitcnt vmcnt(0) lgkmcnt(1)
	v_mul_f64 v[26:27], v[20:21], v[24:25]
	v_mul_f64 v[28:29], v[18:19], v[24:25]
	v_fma_f64 v[26:27], v[18:19], v[22:23], -v[26:27]
	v_fmac_f64_e32 v[28:29], v[20:21], v[22:23]
	global_load_dwordx4 v[22:25], v[8:9], off offset:3984
	ds_read_b128 v[18:21], v196 offset:18816
	ds_write_b128 v196, v[26:29] offset:13328
	s_waitcnt vmcnt(0) lgkmcnt(1)
	v_mul_f64 v[26:27], v[20:21], v[24:25]
	v_mul_f64 v[28:29], v[18:19], v[24:25]
	v_fma_f64 v[26:27], v[18:19], v[22:23], -v[26:27]
	v_fmac_f64_e32 v[28:29], v[20:21], v[22:23]
	global_load_dwordx4 v[22:25], v[2:3], off offset:1280
	ds_read_b128 v[18:21], v196 offset:24304
	ds_write_b128 v196, v[26:29] offset:18816
	s_waitcnt vmcnt(0) lgkmcnt(1)
	v_mul_f64 v[26:27], v[20:21], v[24:25]
	v_mul_f64 v[28:29], v[18:19], v[24:25]
	v_fma_f64 v[26:27], v[18:19], v[22:23], -v[26:27]
	v_fmac_f64_e32 v[28:29], v[20:21], v[22:23]
	global_load_dwordx4 v[22:25], v[16:17], off offset:2672
	ds_read_b128 v[18:21], v196 offset:29792
	ds_write_b128 v196, v[26:29] offset:24304
	s_waitcnt vmcnt(0) lgkmcnt(1)
	v_mul_f64 v[26:27], v[20:21], v[24:25]
	v_mul_f64 v[28:29], v[18:19], v[24:25]
	v_fma_f64 v[26:27], v[18:19], v[22:23], -v[26:27]
	v_fmac_f64_e32 v[28:29], v[20:21], v[22:23]
	global_load_dwordx4 v[22:25], v[12:13], off offset:4064
	ds_read_b128 v[18:21], v196 offset:35280
	ds_write_b128 v196, v[26:29] offset:29792
	s_waitcnt vmcnt(0) lgkmcnt(1)
	v_mul_f64 v[26:27], v[20:21], v[24:25]
	v_mul_f64 v[28:29], v[18:19], v[24:25]
	v_fma_f64 v[26:27], v[18:19], v[22:23], -v[26:27]
	v_fmac_f64_e32 v[28:29], v[20:21], v[22:23]
	global_load_dwordx4 v[22:25], v[14:15], off offset:3136
	ds_read_b128 v[18:21], v196 offset:3136
	ds_write_b128 v196, v[26:29] offset:35280
	s_waitcnt vmcnt(0) lgkmcnt(1)
	v_mul_f64 v[26:27], v[20:21], v[24:25]
	v_mul_f64 v[28:29], v[18:19], v[24:25]
	v_fma_f64 v[26:27], v[18:19], v[22:23], -v[26:27]
	v_fmac_f64_e32 v[28:29], v[20:21], v[22:23]
	global_load_dwordx4 v[22:25], v[0:1], off offset:1984
	ds_read_b128 v[18:21], v196 offset:8624
	ds_write_b128 v196, v[26:29] offset:3136
	s_waitcnt vmcnt(0) lgkmcnt(1)
	v_mul_f64 v[26:27], v[20:21], v[24:25]
	v_mul_f64 v[28:29], v[18:19], v[24:25]
	v_fma_f64 v[26:27], v[18:19], v[22:23], -v[26:27]
	v_fmac_f64_e32 v[28:29], v[20:21], v[22:23]
	global_load_dwordx4 v[22:25], v[4:5], off offset:3376
	ds_read_b128 v[18:21], v196 offset:14112
	ds_write_b128 v196, v[26:29] offset:8624
	s_waitcnt vmcnt(0) lgkmcnt(1)
	v_mul_f64 v[4:5], v[20:21], v[24:25]
	v_mul_f64 v[28:29], v[18:19], v[24:25]
	v_fma_f64 v[26:27], v[18:19], v[22:23], -v[4:5]
	v_fmac_f64_e32 v[28:29], v[20:21], v[22:23]
	global_load_dwordx4 v[22:25], v[10:11], off offset:672
	ds_read_b128 v[18:21], v196 offset:19600
	ds_write_b128 v196, v[26:29] offset:14112
	s_waitcnt vmcnt(0) lgkmcnt(1)
	v_mul_f64 v[4:5], v[20:21], v[24:25]
	v_mul_f64 v[28:29], v[18:19], v[24:25]
	v_fma_f64 v[26:27], v[18:19], v[22:23], -v[4:5]
	v_fmac_f64_e32 v[28:29], v[20:21], v[22:23]
	global_load_dwordx4 v[22:25], v[2:3], off offset:2064
	ds_read_b128 v[18:21], v196 offset:25088
	ds_write_b128 v196, v[26:29] offset:19600
	s_waitcnt vmcnt(0) lgkmcnt(1)
	v_mul_f64 v[4:5], v[20:21], v[24:25]
	v_mul_f64 v[28:29], v[18:19], v[24:25]
	v_fma_f64 v[26:27], v[18:19], v[22:23], -v[4:5]
	v_fmac_f64_e32 v[28:29], v[20:21], v[22:23]
	global_load_dwordx4 v[22:25], v[16:17], off offset:3456
	ds_read_b128 v[18:21], v196 offset:30576
	ds_write_b128 v196, v[26:29] offset:25088
	s_waitcnt vmcnt(0) lgkmcnt(1)
	v_mul_f64 v[4:5], v[20:21], v[24:25]
	v_fma_f64 v[16:17], v[18:19], v[22:23], -v[4:5]
	v_add_co_u32_e32 v4, vcc, s3, v30
	v_mul_f64 v[18:19], v[18:19], v[24:25]
	v_addc_co_u32_e32 v5, vcc, 0, v31, vcc
	v_fmac_f64_e32 v[18:19], v[20:21], v[22:23]
	global_load_dwordx4 v[20:23], v[4:5], off offset:752
	ds_write_b128 v196, v[16:19] offset:30576
	ds_read_b128 v[16:19], v196 offset:36064
	s_mov_b32 s3, 0xbfdc38aa
	s_waitcnt vmcnt(0) lgkmcnt(0)
	v_mul_f64 v[24:25], v[18:19], v[22:23]
	v_mul_f64 v[26:27], v[16:17], v[22:23]
	v_fma_f64 v[24:25], v[16:17], v[20:21], -v[24:25]
	v_fmac_f64_e32 v[26:27], v[18:19], v[20:21]
	global_load_dwordx4 v[20:23], v[14:15], off offset:3920
	ds_read_b128 v[16:19], v196 offset:3920
	ds_write_b128 v196, v[24:27] offset:36064
	s_waitcnt vmcnt(0) lgkmcnt(1)
	v_mul_f64 v[14:15], v[18:19], v[22:23]
	v_fma_f64 v[14:15], v[16:17], v[20:21], -v[14:15]
	v_mul_f64 v[16:17], v[16:17], v[22:23]
	v_fmac_f64_e32 v[16:17], v[18:19], v[20:21]
	global_load_dwordx4 v[18:21], v[0:1], off offset:2768
	ds_write_b128 v196, v[14:17] offset:3920
	ds_read_b128 v[14:17], v196 offset:9408
	s_waitcnt vmcnt(0) lgkmcnt(0)
	v_mul_f64 v[22:23], v[16:17], v[20:21]
	v_mul_f64 v[24:25], v[14:15], v[20:21]
	v_fma_f64 v[22:23], v[14:15], v[18:19], -v[22:23]
	v_fmac_f64_e32 v[24:25], v[16:17], v[18:19]
	global_load_dwordx4 v[18:21], v[8:9], off offset:64
	ds_read_b128 v[14:17], v196 offset:14896
	ds_write_b128 v196, v[22:25] offset:9408
	s_waitcnt vmcnt(0) lgkmcnt(1)
	v_mul_f64 v[22:23], v[16:17], v[20:21]
	v_mul_f64 v[24:25], v[14:15], v[20:21]
	v_fma_f64 v[22:23], v[14:15], v[18:19], -v[22:23]
	v_fmac_f64_e32 v[24:25], v[16:17], v[18:19]
	global_load_dwordx4 v[18:21], v[10:11], off offset:1456
	ds_read_b128 v[14:17], v196 offset:20384
	ds_write_b128 v196, v[22:25] offset:14896
	;; [unrolled: 8-line block ×6, first 2 shown]
	s_waitcnt vmcnt(0) lgkmcnt(1)
	v_mul_f64 v[6:7], v[16:17], v[20:21]
	v_mul_f64 v[24:25], v[14:15], v[20:21]
	v_fma_f64 v[22:23], v[14:15], v[18:19], -v[6:7]
	v_fmac_f64_e32 v[24:25], v[16:17], v[18:19]
	global_load_dwordx4 v[18:21], v[0:1], off offset:3552
	ds_read_b128 v[14:17], v196 offset:10192
	global_load_dwordx4 v[6:9], v[8:9], off offset:848
	ds_write_b128 v196, v[22:25] offset:4704
	s_waitcnt vmcnt(1) lgkmcnt(1)
	v_mul_f64 v[0:1], v[16:17], v[20:21]
	v_mul_f64 v[24:25], v[14:15], v[20:21]
	v_fma_f64 v[22:23], v[14:15], v[18:19], -v[0:1]
	v_fmac_f64_e32 v[24:25], v[16:17], v[18:19]
	ds_read_b128 v[14:17], v196 offset:15680
	ds_write_b128 v196, v[22:25] offset:10192
	s_waitcnt vmcnt(0) lgkmcnt(1)
	v_mul_f64 v[0:1], v[16:17], v[8:9]
	v_mul_f64 v[20:21], v[14:15], v[8:9]
	v_fma_f64 v[18:19], v[14:15], v[6:7], -v[0:1]
	v_fmac_f64_e32 v[20:21], v[16:17], v[6:7]
	global_load_dwordx4 v[14:17], v[10:11], off offset:2240
	ds_read_b128 v[6:9], v196 offset:21168
	ds_write_b128 v196, v[18:21] offset:15680
	s_waitcnt vmcnt(0) lgkmcnt(1)
	v_mul_f64 v[0:1], v[8:9], v[16:17]
	v_fma_f64 v[18:19], v[6:7], v[14:15], -v[0:1]
	global_load_dwordx4 v[0:3], v[2:3], off offset:3632
	v_mul_f64 v[20:21], v[6:7], v[16:17]
	v_fmac_f64_e32 v[20:21], v[8:9], v[14:15]
	ds_read_b128 v[6:9], v196 offset:26656
	ds_write_b128 v196, v[18:21] offset:21168
	s_waitcnt vmcnt(0) lgkmcnt(1)
	v_mul_f64 v[10:11], v[8:9], v[2:3]
	v_mul_f64 v[16:17], v[6:7], v[2:3]
	v_fma_f64 v[14:15], v[6:7], v[0:1], -v[10:11]
	v_fmac_f64_e32 v[16:17], v[8:9], v[0:1]
	global_load_dwordx4 v[6:9], v[12:13], off offset:928
	ds_read_b128 v[0:3], v196 offset:32144
	ds_write_b128 v196, v[14:17] offset:26656
	s_waitcnt vmcnt(0) lgkmcnt(1)
	v_mul_f64 v[10:11], v[2:3], v[8:9]
	v_mul_f64 v[12:13], v[0:1], v[8:9]
	v_fma_f64 v[10:11], v[0:1], v[6:7], -v[10:11]
	v_fmac_f64_e32 v[12:13], v[2:3], v[6:7]
	global_load_dwordx4 v[4:7], v[4:5], off offset:2320
	ds_read_b128 v[0:3], v196 offset:37632
	ds_write_b128 v196, v[10:13] offset:32144
	s_waitcnt vmcnt(0) lgkmcnt(1)
	v_mul_f64 v[8:9], v[2:3], v[6:7]
	v_mul_f64 v[10:11], v[0:1], v[6:7]
	v_fma_f64 v[8:9], v[0:1], v[4:5], -v[8:9]
	v_fmac_f64_e32 v[10:11], v[2:3], v[4:5]
	ds_write_b128 v196, v[8:11] offset:37632
	s_waitcnt lgkmcnt(0)
	; wave barrier
	s_waitcnt lgkmcnt(0)
	ds_read_b128 v[32:35], v196
	ds_read_b128 v[188:191], v196 offset:5488
	ds_read_b128 v[180:183], v196 offset:10976
	;; [unrolled: 1-line block ×48, first 2 shown]
	s_waitcnt lgkmcnt(14)
	v_add_f64 v[198:199], v[188:189], v[192:193]
	v_add_f64 v[188:189], v[188:189], -v[192:193]
	v_add_f64 v[192:193], v[180:181], v[184:185]
	v_add_f64 v[200:201], v[190:191], v[194:195]
	v_add_f64 v[190:191], v[190:191], -v[194:195]
	v_add_f64 v[194:195], v[182:183], v[186:187]
	v_add_f64 v[180:181], v[180:181], -v[184:185]
	v_add_f64 v[184:185], v[172:173], v[176:177]
	v_add_f64 v[172:173], v[176:177], -v[172:173]
	v_add_f64 v[176:177], v[192:193], v[198:199]
	v_add_f64 v[182:183], v[182:183], -v[186:187]
	v_add_f64 v[186:187], v[174:175], v[178:179]
	v_add_f64 v[174:175], v[178:179], -v[174:175]
	v_add_f64 v[178:179], v[194:195], v[200:201]
	v_add_f64 v[176:177], v[184:185], v[176:177]
	;; [unrolled: 1-line block ×4, first 2 shown]
	v_add_f64 v[202:203], v[192:193], -v[198:199]
	v_add_f64 v[204:205], v[194:195], -v[200:201]
	;; [unrolled: 1-line block ×6, first 2 shown]
	v_add_f64 v[206:207], v[172:173], v[180:181]
	v_add_f64 v[208:209], v[174:175], v[182:183]
	v_add_f64 v[212:213], v[174:175], -v[182:183]
	v_add_f64 v[182:183], v[182:183], -v[190:191]
	v_add_f64 v[34:35], v[34:35], v[178:179]
	v_pk_mov_b32 v[214:215], v[32:33], v[32:33] op_sel:[0,1]
	v_add_f64 v[210:211], v[172:173], -v[180:181]
	v_add_f64 v[172:173], v[188:189], -v[172:173]
	;; [unrolled: 1-line block ×4, first 2 shown]
	v_add_f64 v[184:185], v[206:207], v[188:189]
	v_add_f64 v[186:187], v[208:209], v[190:191]
	v_mul_f64 v[188:189], v[198:199], s[22:23]
	v_mul_f64 v[190:191], v[200:201], s[22:23]
	;; [unrolled: 1-line block ×6, first 2 shown]
	v_fmac_f64_e32 v[214:215], s[20:21], v[176:177]
	v_pk_mov_b32 v[176:177], v[34:35], v[34:35] op_sel:[0,1]
	v_mul_f64 v[206:207], v[210:211], s[24:25]
	v_mul_f64 v[210:211], v[180:181], s[26:27]
	v_fmac_f64_e32 v[176:177], s[20:21], v[178:179]
	v_fma_f64 v[178:179], v[202:203], s[8:9], -v[198:199]
	v_fma_f64 v[198:199], v[204:205], s[8:9], -v[200:201]
	;; [unrolled: 1-line block ×3, first 2 shown]
	v_fmac_f64_e32 v[188:189], s[4:5], v[192:193]
	v_fma_f64 v[192:193], v[204:205], s[16:17], -v[190:191]
	v_fmac_f64_e32 v[190:191], s[4:5], v[194:195]
	v_fma_f64 v[202:203], v[182:183], s[6:7], -v[208:209]
	;; [unrolled: 2-line block ×3, first 2 shown]
	v_fmac_f64_e32 v[206:207], s[18:19], v[172:173]
	v_fmac_f64_e32 v[210:211], s[14:15], v[172:173]
	v_add_f64 v[204:205], v[188:189], v[214:215]
	v_add_f64 v[216:217], v[190:191], v[176:177]
	;; [unrolled: 1-line block ×5, first 2 shown]
	v_fmac_f64_e32 v[202:203], s[2:3], v[186:187]
	v_fmac_f64_e32 v[212:213], s[2:3], v[186:187]
	v_add_f64 v[192:193], v[192:193], v[176:177]
	v_fmac_f64_e32 v[206:207], s[2:3], v[184:185]
	v_fmac_f64_e32 v[194:195], s[2:3], v[184:185]
	;; [unrolled: 1-line block ×3, first 2 shown]
	v_add_f64 v[176:177], v[198:199], v[212:213]
	v_add_f64 v[180:181], v[188:189], -v[202:203]
	v_add_f64 v[184:185], v[188:189], v[202:203]
	v_add_f64 v[188:189], v[198:199], -v[212:213]
	;; [unrolled: 2-line block ×3, first 2 shown]
	v_add_f64 v[168:169], v[156:157], v[160:161]
	v_add_f64 v[200:201], v[166:167], v[170:171]
	v_add_f64 v[166:167], v[166:167], -v[170:171]
	v_add_f64 v[170:171], v[158:159], v[162:163]
	v_add_f64 v[156:157], v[156:157], -v[160:161]
	;; [unrolled: 2-line block ×3, first 2 shown]
	v_add_f64 v[152:153], v[168:169], v[198:199]
	v_fmac_f64_e32 v[208:209], s[18:19], v[174:175]
	v_add_f64 v[158:159], v[158:159], -v[162:163]
	v_add_f64 v[162:163], v[142:143], v[154:155]
	v_add_f64 v[142:143], v[154:155], -v[142:143]
	v_add_f64 v[154:155], v[170:171], v[200:201]
	v_add_f64 v[152:153], v[160:161], v[152:153]
	v_fmac_f64_e32 v[208:209], s[2:3], v[186:187]
	v_add_f64 v[154:155], v[162:163], v[154:155]
	v_add_f64 v[76:77], v[76:77], v[152:153]
	;; [unrolled: 1-line block ×3, first 2 shown]
	v_add_f64 v[174:175], v[216:217], -v[206:207]
	v_add_f64 v[178:179], v[192:193], -v[210:211]
	v_add_f64 v[182:183], v[194:195], v[190:191]
	v_add_f64 v[186:187], v[190:191], -v[194:195]
	v_add_f64 v[190:191], v[210:211], v[192:193]
	;; [unrolled: 2-line block ×3, first 2 shown]
	v_add_f64 v[202:203], v[168:169], -v[198:199]
	v_add_f64 v[204:205], v[170:171], -v[200:201]
	;; [unrolled: 1-line block ×6, first 2 shown]
	v_add_f64 v[206:207], v[140:141], v[156:157]
	v_add_f64 v[208:209], v[142:143], v[158:159]
	v_add_f64 v[212:213], v[142:143], -v[158:159]
	v_add_f64 v[158:159], v[158:159], -v[166:167]
	v_add_f64 v[78:79], v[78:79], v[154:155]
	v_pk_mov_b32 v[214:215], v[76:77], v[76:77] op_sel:[0,1]
	v_add_f64 v[210:211], v[140:141], -v[156:157]
	v_add_f64 v[140:141], v[164:165], -v[140:141]
	;; [unrolled: 1-line block ×4, first 2 shown]
	v_add_f64 v[160:161], v[206:207], v[164:165]
	v_add_f64 v[162:163], v[208:209], v[166:167]
	v_mul_f64 v[164:165], v[198:199], s[22:23]
	v_mul_f64 v[166:167], v[200:201], s[22:23]
	;; [unrolled: 1-line block ×6, first 2 shown]
	v_fmac_f64_e32 v[214:215], s[20:21], v[152:153]
	v_pk_mov_b32 v[152:153], v[78:79], v[78:79] op_sel:[0,1]
	v_mul_f64 v[206:207], v[210:211], s[24:25]
	v_mul_f64 v[210:211], v[156:157], s[26:27]
	v_fmac_f64_e32 v[152:153], s[20:21], v[154:155]
	v_fma_f64 v[154:155], v[202:203], s[8:9], -v[198:199]
	v_fma_f64 v[198:199], v[204:205], s[8:9], -v[200:201]
	;; [unrolled: 1-line block ×3, first 2 shown]
	v_fmac_f64_e32 v[164:165], s[4:5], v[168:169]
	v_fma_f64 v[168:169], v[204:205], s[16:17], -v[166:167]
	v_fmac_f64_e32 v[166:167], s[4:5], v[170:171]
	v_fma_f64 v[202:203], v[158:159], s[6:7], -v[208:209]
	;; [unrolled: 2-line block ×3, first 2 shown]
	v_fmac_f64_e32 v[206:207], s[18:19], v[140:141]
	v_fmac_f64_e32 v[210:211], s[14:15], v[140:141]
	v_add_f64 v[204:205], v[164:165], v[214:215]
	v_add_f64 v[216:217], v[166:167], v[152:153]
	;; [unrolled: 1-line block ×5, first 2 shown]
	v_fmac_f64_e32 v[202:203], s[2:3], v[162:163]
	v_fmac_f64_e32 v[212:213], s[2:3], v[162:163]
	v_add_f64 v[168:169], v[168:169], v[152:153]
	v_fmac_f64_e32 v[206:207], s[2:3], v[160:161]
	v_fmac_f64_e32 v[170:171], s[2:3], v[160:161]
	;; [unrolled: 1-line block ×3, first 2 shown]
	v_add_f64 v[152:153], v[198:199], v[212:213]
	v_add_f64 v[156:157], v[164:165], -v[202:203]
	v_add_f64 v[160:161], v[164:165], v[202:203]
	v_add_f64 v[164:165], v[198:199], -v[212:213]
	;; [unrolled: 2-line block ×3, first 2 shown]
	v_add_f64 v[132:133], v[112:113], v[120:121]
	v_fmac_f64_e32 v[208:209], s[18:19], v[142:143]
	v_add_f64 v[200:201], v[130:131], v[134:135]
	v_add_f64 v[130:131], v[130:131], -v[134:135]
	v_add_f64 v[134:135], v[114:115], v[122:123]
	v_add_f64 v[112:113], v[112:113], -v[120:121]
	;; [unrolled: 2-line block ×3, first 2 shown]
	v_add_f64 v[108:109], v[132:133], v[198:199]
	v_fmac_f64_e32 v[208:209], s[2:3], v[162:163]
	v_add_f64 v[114:115], v[114:115], -v[122:123]
	v_add_f64 v[122:123], v[106:107], v[110:111]
	v_add_f64 v[106:107], v[110:111], -v[106:107]
	v_add_f64 v[110:111], v[134:135], v[200:201]
	v_add_f64 v[202:203], v[132:133], -v[198:199]
	v_add_f64 v[198:199], v[198:199], -v[120:121]
	;; [unrolled: 1-line block ×3, first 2 shown]
	v_add_f64 v[120:121], v[120:121], v[108:109]
	v_add_f64 v[140:141], v[204:205], v[208:209]
	v_add_f64 v[154:155], v[168:169], -v[210:211]
	v_add_f64 v[158:159], v[170:171], v[166:167]
	v_add_f64 v[162:163], v[166:167], -v[170:171]
	;; [unrolled: 2-line block ×3, first 2 shown]
	v_add_f64 v[204:205], v[134:135], -v[200:201]
	v_add_f64 v[200:201], v[200:201], -v[122:123]
	;; [unrolled: 1-line block ×3, first 2 shown]
	v_add_f64 v[122:123], v[122:123], v[110:111]
	v_add_f64 v[108:109], v[88:89], v[120:121]
	v_add_f64 v[142:143], v[216:217], -v[206:207]
	v_add_f64 v[170:171], v[206:207], v[216:217]
	v_add_f64 v[206:207], v[104:105], v[112:113]
	;; [unrolled: 1-line block ×3, first 2 shown]
	v_add_f64 v[210:211], v[104:105], -v[112:113]
	v_add_f64 v[212:213], v[106:107], -v[114:115]
	v_add_f64 v[110:111], v[90:91], v[122:123]
	v_pk_mov_b32 v[214:215], v[108:109], v[108:109] op_sel:[0,1]
	v_add_f64 v[104:105], v[128:129], -v[104:105]
	v_add_f64 v[106:107], v[130:131], -v[106:107]
	;; [unrolled: 1-line block ×4, first 2 shown]
	v_add_f64 v[128:129], v[206:207], v[128:129]
	v_add_f64 v[130:131], v[208:209], v[130:131]
	v_mul_f64 v[88:89], v[198:199], s[22:23]
	v_mul_f64 v[90:91], v[200:201], s[22:23]
	;; [unrolled: 1-line block ×6, first 2 shown]
	v_fmac_f64_e32 v[214:215], s[20:21], v[120:121]
	v_pk_mov_b32 v[120:121], v[110:111], v[110:111] op_sel:[0,1]
	v_mul_f64 v[212:213], v[114:115], s[26:27]
	v_fmac_f64_e32 v[120:121], s[20:21], v[122:123]
	v_fma_f64 v[122:123], v[202:203], s[8:9], -v[198:199]
	v_fma_f64 v[198:199], v[204:205], s[8:9], -v[200:201]
	;; [unrolled: 1-line block ×3, first 2 shown]
	v_fmac_f64_e32 v[88:89], s[4:5], v[132:133]
	v_fma_f64 v[132:133], v[204:205], s[16:17], -v[90:91]
	v_fmac_f64_e32 v[90:91], s[4:5], v[134:135]
	v_fma_f64 v[134:135], v[112:113], s[6:7], -v[206:207]
	v_fma_f64 v[202:203], v[114:115], s[6:7], -v[208:209]
	v_mul_f64 v[210:211], v[112:113], s[26:27]
	v_fmac_f64_e32 v[212:213], s[14:15], v[106:107]
	v_add_f64 v[122:123], v[122:123], v[214:215]
	v_add_f64 v[198:199], v[198:199], v[120:121]
	v_fmac_f64_e32 v[134:135], s[2:3], v[128:129]
	v_fmac_f64_e32 v[202:203], s[2:3], v[130:131]
	;; [unrolled: 1-line block ×4, first 2 shown]
	v_add_f64 v[216:217], v[90:91], v[120:121]
	v_add_f64 v[200:201], v[200:201], v[214:215]
	;; [unrolled: 1-line block ×3, first 2 shown]
	v_fmac_f64_e32 v[212:213], s[2:3], v[130:131]
	v_add_f64 v[112:113], v[122:123], -v[202:203]
	v_add_f64 v[114:115], v[134:135], v[198:199]
	v_add_f64 v[120:121], v[122:123], v[202:203]
	v_add_f64 v[122:123], v[198:199], -v[134:135]
	v_add_f64 v[198:199], v[144:145], v[148:149]
	v_add_f64 v[144:145], v[144:145], -v[148:149]
	v_add_f64 v[148:149], v[80:81], v[84:85]
	v_fmac_f64_e32 v[208:209], s[18:19], v[106:107]
	v_fmac_f64_e32 v[206:207], s[2:3], v[128:129]
	;; [unrolled: 1-line block ×3, first 2 shown]
	v_add_f64 v[104:105], v[200:201], v[212:213]
	v_add_f64 v[128:129], v[200:201], -v[212:213]
	v_add_f64 v[200:201], v[146:147], v[150:151]
	v_add_f64 v[146:147], v[146:147], -v[150:151]
	;; [unrolled: 2-line block ×4, first 2 shown]
	v_add_f64 v[72:73], v[148:149], v[198:199]
	v_add_f64 v[204:205], v[88:89], v[214:215]
	v_fmac_f64_e32 v[208:209], s[2:3], v[130:131]
	v_add_f64 v[90:91], v[216:217], -v[206:207]
	v_add_f64 v[134:135], v[206:207], v[216:217]
	v_add_f64 v[82:83], v[82:83], -v[86:87]
	v_add_f64 v[86:87], v[70:71], v[74:75]
	;; [unrolled: 2-line block ×3, first 2 shown]
	v_add_f64 v[206:207], v[68:69], v[80:81]
	v_add_f64 v[72:73], v[84:85], v[72:73]
	;; [unrolled: 1-line block ×3, first 2 shown]
	v_add_f64 v[106:107], v[132:133], -v[210:211]
	v_add_f64 v[130:131], v[210:211], v[132:133]
	v_add_f64 v[132:133], v[204:205], -v[208:209]
	v_add_f64 v[202:203], v[148:149], -v[198:199]
	v_add_f64 v[198:199], v[198:199], -v[84:85]
	v_add_f64 v[148:149], v[84:85], -v[148:149]
	v_add_f64 v[208:209], v[70:71], v[82:83]
	v_add_f64 v[210:211], v[68:69], -v[80:81]
	v_add_f64 v[68:69], v[144:145], -v[68:69]
	v_add_f64 v[80:81], v[80:81], -v[144:145]
	v_add_f64 v[74:75], v[86:87], v[74:75]
	v_add_f64 v[84:85], v[206:207], v[144:145]
	v_add_f64 v[144:145], v[64:65], v[72:73]
	v_add_f64 v[204:205], v[150:151], -v[200:201]
	v_add_f64 v[200:201], v[200:201], -v[86:87]
	;; [unrolled: 1-line block ×6, first 2 shown]
	v_add_f64 v[86:87], v[208:209], v[146:147]
	v_add_f64 v[146:147], v[66:67], v[74:75]
	v_pk_mov_b32 v[214:215], v[144:145], v[144:145] op_sel:[0,1]
	v_mul_f64 v[64:65], v[198:199], s[22:23]
	v_mul_f64 v[66:67], v[200:201], s[22:23]
	;; [unrolled: 1-line block ×6, first 2 shown]
	v_fmac_f64_e32 v[214:215], s[20:21], v[72:73]
	v_pk_mov_b32 v[72:73], v[146:147], v[146:147] op_sel:[0,1]
	v_mul_f64 v[210:211], v[80:81], s[26:27]
	v_mul_f64 v[212:213], v[82:83], s[26:27]
	v_fmac_f64_e32 v[72:73], s[20:21], v[74:75]
	v_fma_f64 v[74:75], v[202:203], s[8:9], -v[198:199]
	v_fma_f64 v[198:199], v[204:205], s[8:9], -v[200:201]
	;; [unrolled: 1-line block ×3, first 2 shown]
	v_fmac_f64_e32 v[64:65], s[4:5], v[148:149]
	v_fma_f64 v[148:149], v[204:205], s[16:17], -v[66:67]
	v_fmac_f64_e32 v[66:67], s[4:5], v[150:151]
	v_fma_f64 v[150:151], v[80:81], s[6:7], -v[206:207]
	v_fma_f64 v[80:81], v[82:83], s[6:7], -v[208:209]
	v_fmac_f64_e32 v[212:213], s[14:15], v[70:71]
	v_add_f64 v[82:83], v[74:75], v[214:215]
	v_add_f64 v[198:199], v[198:199], v[72:73]
	v_fmac_f64_e32 v[150:151], s[2:3], v[84:85]
	v_fmac_f64_e32 v[80:81], s[2:3], v[86:87]
	;; [unrolled: 1-line block ×4, first 2 shown]
	v_add_f64 v[204:205], v[66:67], v[72:73]
	v_add_f64 v[200:201], v[200:201], v[214:215]
	v_add_f64 v[148:149], v[148:149], v[72:73]
	v_fmac_f64_e32 v[212:213], s[2:3], v[86:87]
	v_add_f64 v[72:73], v[82:83], -v[80:81]
	v_add_f64 v[74:75], v[150:151], v[198:199]
	v_add_f64 v[80:81], v[82:83], v[80:81]
	v_add_f64 v[82:83], v[198:199], -v[150:151]
	v_add_f64 v[198:199], v[56:57], v[60:61]
	v_add_f64 v[56:57], v[56:57], -v[60:61]
	v_add_f64 v[60:61], v[48:49], v[52:53]
	v_fmac_f64_e32 v[206:207], s[2:3], v[84:85]
	v_fmac_f64_e32 v[210:211], s[2:3], v[84:85]
	v_add_f64 v[68:69], v[200:201], v[212:213]
	v_add_f64 v[84:85], v[200:201], -v[212:213]
	v_add_f64 v[200:201], v[58:59], v[62:63]
	v_add_f64 v[58:59], v[58:59], -v[62:63]
	;; [unrolled: 2-line block ×4, first 2 shown]
	v_add_f64 v[44:45], v[60:61], v[198:199]
	v_fmac_f64_e32 v[208:209], s[18:19], v[70:71]
	v_add_f64 v[50:51], v[50:51], -v[54:55]
	v_add_f64 v[54:55], v[42:43], v[46:47]
	v_add_f64 v[42:43], v[46:47], -v[42:43]
	v_add_f64 v[46:47], v[62:63], v[200:201]
	v_add_f64 v[44:45], v[52:53], v[44:45]
	v_add_f64 v[202:203], v[64:65], v[214:215]
	v_fmac_f64_e32 v[208:209], s[2:3], v[86:87]
	v_add_f64 v[46:47], v[54:55], v[46:47]
	v_add_f64 v[28:29], v[28:29], v[44:45]
	;; [unrolled: 1-line block ×3, first 2 shown]
	v_add_f64 v[66:67], v[204:205], -v[206:207]
	v_add_f64 v[70:71], v[148:149], -v[210:211]
	v_add_f64 v[86:87], v[210:211], v[148:149]
	v_add_f64 v[148:149], v[202:203], -v[208:209]
	v_add_f64 v[150:151], v[206:207], v[204:205]
	v_add_f64 v[202:203], v[60:61], -v[198:199]
	v_add_f64 v[204:205], v[62:63], -v[200:201]
	;; [unrolled: 1-line block ×6, first 2 shown]
	v_add_f64 v[206:207], v[40:41], v[48:49]
	v_add_f64 v[208:209], v[42:43], v[50:51]
	v_add_f64 v[212:213], v[42:43], -v[50:51]
	v_add_f64 v[50:51], v[50:51], -v[58:59]
	v_add_f64 v[30:31], v[30:31], v[46:47]
	v_pk_mov_b32 v[214:215], v[28:29], v[28:29] op_sel:[0,1]
	v_add_f64 v[210:211], v[40:41], -v[48:49]
	v_add_f64 v[40:41], v[56:57], -v[40:41]
	;; [unrolled: 1-line block ×4, first 2 shown]
	v_add_f64 v[52:53], v[206:207], v[56:57]
	v_add_f64 v[54:55], v[208:209], v[58:59]
	v_mul_f64 v[56:57], v[198:199], s[22:23]
	v_mul_f64 v[58:59], v[200:201], s[22:23]
	;; [unrolled: 1-line block ×6, first 2 shown]
	v_fmac_f64_e32 v[214:215], s[20:21], v[44:45]
	v_pk_mov_b32 v[44:45], v[30:31], v[30:31] op_sel:[0,1]
	v_mul_f64 v[206:207], v[210:211], s[24:25]
	v_mul_f64 v[210:211], v[48:49], s[26:27]
	v_fmac_f64_e32 v[44:45], s[20:21], v[46:47]
	v_fma_f64 v[46:47], v[202:203], s[8:9], -v[198:199]
	v_fma_f64 v[198:199], v[204:205], s[8:9], -v[200:201]
	;; [unrolled: 1-line block ×3, first 2 shown]
	v_fmac_f64_e32 v[56:57], s[4:5], v[60:61]
	v_fma_f64 v[60:61], v[204:205], s[16:17], -v[58:59]
	v_fmac_f64_e32 v[58:59], s[4:5], v[62:63]
	v_fma_f64 v[202:203], v[50:51], s[6:7], -v[208:209]
	;; [unrolled: 2-line block ×3, first 2 shown]
	v_fmac_f64_e32 v[206:207], s[18:19], v[40:41]
	v_fmac_f64_e32 v[210:211], s[14:15], v[40:41]
	v_add_f64 v[204:205], v[56:57], v[214:215]
	v_add_f64 v[216:217], v[58:59], v[44:45]
	;; [unrolled: 1-line block ×5, first 2 shown]
	v_fmac_f64_e32 v[202:203], s[2:3], v[54:55]
	v_fmac_f64_e32 v[212:213], s[2:3], v[54:55]
	v_add_f64 v[60:61], v[60:61], v[44:45]
	v_fmac_f64_e32 v[206:207], s[2:3], v[52:53]
	v_fmac_f64_e32 v[62:63], s[2:3], v[52:53]
	;; [unrolled: 1-line block ×3, first 2 shown]
	v_add_f64 v[44:45], v[198:199], v[212:213]
	v_add_f64 v[48:49], v[56:57], -v[202:203]
	v_add_f64 v[52:53], v[56:57], v[202:203]
	v_add_f64 v[56:57], v[198:199], -v[212:213]
	s_waitcnt lgkmcnt(7)
	v_add_f64 v[198:199], v[136:137], v[0:1]
	v_add_f64 v[0:1], v[136:137], -v[0:1]
	v_add_f64 v[136:137], v[116:117], v[124:125]
	v_fmac_f64_e32 v[208:209], s[18:19], v[42:43]
	v_add_f64 v[200:201], v[138:139], v[2:3]
	v_add_f64 v[2:3], v[138:139], -v[2:3]
	v_add_f64 v[138:139], v[118:119], v[126:127]
	v_add_f64 v[116:117], v[116:117], -v[124:125]
	;; [unrolled: 2-line block ×3, first 2 shown]
	v_add_f64 v[100:101], v[136:137], v[198:199]
	v_fmac_f64_e32 v[208:209], s[2:3], v[54:55]
	v_add_f64 v[42:43], v[216:217], -v[206:207]
	v_add_f64 v[50:51], v[62:63], v[58:59]
	v_add_f64 v[54:55], v[58:59], -v[62:63]
	v_add_f64 v[62:63], v[206:207], v[216:217]
	;; [unrolled: 2-line block ×4, first 2 shown]
	v_add_f64 v[206:207], v[96:97], v[116:117]
	v_add_f64 v[100:101], v[124:125], v[100:101]
	;; [unrolled: 1-line block ×3, first 2 shown]
	v_add_f64 v[46:47], v[60:61], -v[210:211]
	v_add_f64 v[58:59], v[210:211], v[60:61]
	v_add_f64 v[60:61], v[204:205], -v[208:209]
	v_add_f64 v[202:203], v[136:137], -v[198:199]
	;; [unrolled: 1-line block ×4, first 2 shown]
	v_add_f64 v[208:209], v[98:99], v[118:119]
	v_add_f64 v[210:211], v[96:97], -v[116:117]
	v_add_f64 v[96:97], v[0:1], -v[96:97]
	;; [unrolled: 1-line block ×3, first 2 shown]
	v_add_f64 v[102:103], v[126:127], v[102:103]
	v_add_f64 v[124:125], v[206:207], v[0:1]
	;; [unrolled: 1-line block ×3, first 2 shown]
	v_add_f64 v[204:205], v[138:139], -v[200:201]
	v_add_f64 v[200:201], v[200:201], -v[126:127]
	;; [unrolled: 1-line block ×6, first 2 shown]
	v_add_f64 v[126:127], v[208:209], v[2:3]
	v_add_f64 v[2:3], v[94:95], v[102:103]
	v_pk_mov_b32 v[214:215], v[0:1], v[0:1] op_sel:[0,1]
	v_mul_f64 v[92:93], v[198:199], s[22:23]
	v_mul_f64 v[94:95], v[200:201], s[22:23]
	;; [unrolled: 1-line block ×6, first 2 shown]
	v_fmac_f64_e32 v[214:215], s[20:21], v[100:101]
	v_pk_mov_b32 v[100:101], v[2:3], v[2:3] op_sel:[0,1]
	v_mul_f64 v[206:207], v[210:211], s[24:25]
	v_mul_f64 v[210:211], v[116:117], s[26:27]
	v_fmac_f64_e32 v[100:101], s[20:21], v[102:103]
	v_fma_f64 v[102:103], v[202:203], s[8:9], -v[198:199]
	v_fma_f64 v[198:199], v[204:205], s[8:9], -v[200:201]
	;; [unrolled: 1-line block ×3, first 2 shown]
	v_fmac_f64_e32 v[92:93], s[4:5], v[136:137]
	v_fma_f64 v[136:137], v[204:205], s[16:17], -v[94:95]
	v_fma_f64 v[204:205], v[118:119], s[6:7], -v[208:209]
	v_fmac_f64_e32 v[212:213], s[14:15], v[98:99]
	v_fmac_f64_e32 v[94:95], s[4:5], v[138:139]
	v_fma_f64 v[202:203], v[116:117], s[6:7], -v[206:207]
	v_fmac_f64_e32 v[206:207], s[18:19], v[96:97]
	v_fmac_f64_e32 v[208:209], s[18:19], v[98:99]
	;; [unrolled: 1-line block ×3, first 2 shown]
	v_add_f64 v[96:97], v[102:103], v[214:215]
	v_add_f64 v[98:99], v[198:199], v[100:101]
	;; [unrolled: 1-line block ×3, first 2 shown]
	v_fmac_f64_e32 v[204:205], s[2:3], v[126:127]
	v_fmac_f64_e32 v[212:213], s[2:3], v[126:127]
	v_add_f64 v[94:95], v[94:95], v[100:101]
	v_add_f64 v[200:201], v[136:137], v[100:101]
	v_fmac_f64_e32 v[206:207], s[2:3], v[124:125]
	v_fmac_f64_e32 v[202:203], s[2:3], v[124:125]
	;; [unrolled: 1-line block ×3, first 2 shown]
	v_add_f64 v[124:125], v[198:199], v[212:213]
	v_add_f64 v[116:117], v[96:97], -v[204:205]
	v_add_f64 v[100:101], v[96:97], v[204:205]
	v_add_f64 v[96:97], v[198:199], -v[212:213]
	s_waitcnt lgkmcnt(0)
	v_add_f64 v[198:199], v[20:21], v[24:25]
	v_add_f64 v[20:21], v[20:21], -v[24:25]
	v_add_f64 v[24:25], v[12:13], v[16:17]
	v_fmac_f64_e32 v[208:209], s[2:3], v[126:127]
	v_add_f64 v[126:127], v[200:201], -v[210:211]
	v_add_f64 v[118:119], v[202:203], v[98:99]
	v_add_f64 v[102:103], v[98:99], -v[202:203]
	v_add_f64 v[98:99], v[210:211], v[200:201]
	v_add_f64 v[200:201], v[22:23], v[26:27]
	v_add_f64 v[22:23], v[22:23], -v[26:27]
	v_add_f64 v[26:27], v[14:15], v[18:19]
	v_add_f64 v[12:13], v[12:13], -v[16:17]
	;; [unrolled: 2-line block ×5, first 2 shown]
	v_add_f64 v[10:11], v[26:27], v[200:201]
	v_add_f64 v[8:9], v[16:17], v[8:9]
	;; [unrolled: 1-line block ×3, first 2 shown]
	v_add_f64 v[138:139], v[94:95], -v[206:207]
	v_add_f64 v[94:95], v[206:207], v[94:95]
	v_add_f64 v[202:203], v[24:25], -v[198:199]
	v_add_f64 v[198:199], v[198:199], -v[16:17]
	v_add_f64 v[206:207], v[4:5], v[12:13]
	v_add_f64 v[210:211], v[4:5], -v[12:13]
	v_add_f64 v[214:215], v[20:21], -v[4:5]
	v_add_f64 v[10:11], v[18:19], v[10:11]
	v_add_f64 v[4:5], v[36:37], v[8:9]
	;; [unrolled: 1-line block ×3, first 2 shown]
	v_add_f64 v[92:93], v[92:93], -v[208:209]
	v_add_f64 v[204:205], v[26:27], -v[200:201]
	;; [unrolled: 1-line block ×5, first 2 shown]
	v_add_f64 v[208:209], v[6:7], v[14:15]
	v_add_f64 v[212:213], v[6:7], -v[14:15]
	v_add_f64 v[216:217], v[22:23], -v[6:7]
	;; [unrolled: 1-line block ×3, first 2 shown]
	v_add_f64 v[16:17], v[206:207], v[20:21]
	v_add_f64 v[6:7], v[38:39], v[10:11]
	v_mul_f64 v[20:21], v[198:199], s[22:23]
	v_mul_f64 v[198:199], v[210:211], s[24:25]
	v_pk_mov_b32 v[210:211], v[4:5], v[4:5] op_sel:[0,1]
	v_add_f64 v[14:15], v[14:15], -v[22:23]
	v_add_f64 v[18:19], v[208:209], v[22:23]
	v_mul_f64 v[22:23], v[200:201], s[22:23]
	v_mul_f64 v[36:37], v[24:25], s[4:5]
	;; [unrolled: 1-line block ×4, first 2 shown]
	v_fmac_f64_e32 v[210:211], s[20:21], v[8:9]
	v_pk_mov_b32 v[8:9], v[6:7], v[6:7] op_sel:[0,1]
	v_mul_f64 v[206:207], v[12:13], s[26:27]
	v_mul_f64 v[208:209], v[14:15], s[26:27]
	v_fmac_f64_e32 v[8:9], s[20:21], v[10:11]
	v_fma_f64 v[10:11], v[202:203], s[8:9], -v[36:37]
	v_fma_f64 v[36:37], v[204:205], s[8:9], -v[38:39]
	;; [unrolled: 1-line block ×3, first 2 shown]
	v_fmac_f64_e32 v[20:21], s[4:5], v[24:25]
	v_fma_f64 v[24:25], v[204:205], s[16:17], -v[22:23]
	v_fmac_f64_e32 v[22:23], s[4:5], v[26:27]
	v_fma_f64 v[12:13], v[12:13], s[6:7], -v[198:199]
	;; [unrolled: 2-line block ×3, first 2 shown]
	v_fmac_f64_e32 v[206:207], s[14:15], v[214:215]
	v_add_f64 v[204:205], v[22:23], v[8:9]
	v_add_f64 v[10:11], v[10:11], v[210:211]
	v_fmac_f64_e32 v[198:199], s[2:3], v[16:17]
	v_fmac_f64_e32 v[14:15], s[2:3], v[18:19]
	v_add_f64 v[202:203], v[20:21], v[210:211]
	v_add_f64 v[210:211], v[38:39], v[210:211]
	v_fmac_f64_e32 v[12:13], s[2:3], v[16:17]
	v_fmac_f64_e32 v[206:207], s[2:3], v[16:17]
	v_add_f64 v[38:39], v[204:205], -v[198:199]
	v_add_f64 v[20:21], v[10:11], -v[14:15]
	v_add_f64 v[16:17], v[10:11], v[14:15]
	v_add_f64 v[10:11], v[198:199], v[204:205]
	v_accvgpr_read_b32 v198, a33
	s_waitcnt lgkmcnt(0)
	; wave barrier
	ds_write_b128 v198, v[32:35]
	ds_write_b128 v198, v[172:175] offset:16
	ds_write_b128 v198, v[176:179] offset:32
	ds_write_b128 v198, v[180:183] offset:48
	ds_write_b128 v198, v[184:187] offset:64
	ds_write_b128 v198, v[188:191] offset:80
	ds_write_b128 v198, v[192:195] offset:96
	buffer_load_dword v32, off, s[40:43], 0 offset:1760 ; 4-byte Folded Reload
	s_waitcnt vmcnt(0)
	ds_write_b128 v32, v[76:79]
	ds_write_b128 v32, v[140:143] offset:16
	ds_write_b128 v32, v[152:155] offset:32
	ds_write_b128 v32, v[156:159] offset:48
	ds_write_b128 v32, v[160:163] offset:64
	ds_write_b128 v32, v[164:167] offset:80
	ds_write_b128 v32, v[168:171] offset:96
	buffer_load_dword v32, off, s[40:43], 0 offset:1752 ; 4-byte Folded Reload
	s_waitcnt vmcnt(0)
	;; [unrolled: 9-line block ×5, first 2 shown]
	ds_write_b128 v28, v[0:3]
	ds_write_b128 v28, v[136:139] offset:16
	ds_write_b128 v28, v[124:127] offset:32
	;; [unrolled: 1-line block ×6, first 2 shown]
	buffer_load_dword v0, off, s[40:43], 0 offset:780 ; 4-byte Folded Reload
	v_fmac_f64_e32 v[200:201], s[18:19], v[216:217]
	v_fmac_f64_e32 v[208:209], s[14:15], v[216:217]
	v_add_f64 v[212:213], v[36:37], v[8:9]
	v_add_f64 v[8:9], v[24:25], v[8:9]
	v_fmac_f64_e32 v[200:201], s[2:3], v[18:19]
	v_fmac_f64_e32 v[208:209], s[2:3], v[18:19]
	v_add_f64 v[36:37], v[202:203], v[200:201]
	v_add_f64 v[24:25], v[210:211], v[208:209]
	v_add_f64 v[26:27], v[8:9], -v[206:207]
	v_add_f64 v[22:23], v[12:13], v[212:213]
	v_add_f64 v[18:19], v[212:213], -v[12:13]
	v_add_f64 v[12:13], v[210:211], -v[208:209]
	v_add_f64 v[14:15], v[206:207], v[8:9]
	v_add_f64 v[8:9], v[202:203], -v[200:201]
	s_waitcnt vmcnt(0)
	ds_write_b128 v0, v[4:7]
	ds_write_b128 v0, v[36:39] offset:16
	ds_write_b128 v0, v[24:27] offset:32
	;; [unrolled: 1-line block ×6, first 2 shown]
	s_waitcnt lgkmcnt(0)
	; wave barrier
	s_waitcnt lgkmcnt(0)
	ds_read_b128 v[0:3], v196
	ds_read_b128 v[192:195], v196 offset:5488
	ds_read_b128 v[188:191], v196 offset:10976
	;; [unrolled: 1-line block ×48, first 2 shown]
	buffer_load_dword v198, off, s[40:43], 0 offset:1024 ; 4-byte Folded Reload
	buffer_load_dword v199, off, s[40:43], 0 offset:1028 ; 4-byte Folded Reload
	;; [unrolled: 1-line block ×4, first 2 shown]
	s_waitcnt vmcnt(0) lgkmcnt(14)
	v_mul_f64 v[230:231], v[200:201], v[194:195]
	v_fmac_f64_e32 v[230:231], v[198:199], v[192:193]
	v_mul_f64 v[192:193], v[200:201], v[192:193]
	v_fma_f64 v[234:235], v[198:199], v[194:195], -v[192:193]
	buffer_load_dword v192, off, s[40:43], 0 offset:976 ; 4-byte Folded Reload
	buffer_load_dword v193, off, s[40:43], 0 offset:980 ; 4-byte Folded Reload
	buffer_load_dword v194, off, s[40:43], 0 offset:984 ; 4-byte Folded Reload
	buffer_load_dword v195, off, s[40:43], 0 offset:988 ; 4-byte Folded Reload
	s_waitcnt vmcnt(0)
	v_mul_f64 v[226:227], v[194:195], v[190:191]
	v_fmac_f64_e32 v[226:227], v[192:193], v[188:189]
	v_mul_f64 v[188:189], v[194:195], v[188:189]
	v_fma_f64 v[232:233], v[192:193], v[190:191], -v[188:189]
	buffer_load_dword v188, off, s[40:43], 0 offset:992 ; 4-byte Folded Reload
	buffer_load_dword v189, off, s[40:43], 0 offset:996 ; 4-byte Folded Reload
	buffer_load_dword v190, off, s[40:43], 0 offset:1000 ; 4-byte Folded Reload
	buffer_load_dword v191, off, s[40:43], 0 offset:1004 ; 4-byte Folded Reload
	s_waitcnt vmcnt(0)
	;; [unrolled: 9-line block ×16, first 2 shown]
	v_mul_f64 v[204:205], v[134:135], v[130:131]
	v_fmac_f64_e32 v[204:205], v[132:133], v[128:129]
	v_mul_f64 v[128:129], v[134:135], v[128:129]
	v_fma_f64 v[206:207], v[132:133], v[130:131], -v[128:129]
	buffer_load_dword v128, off, s[40:43], 0 offset:1800 ; 4-byte Folded Reload
	buffer_load_dword v129, off, s[40:43], 0 offset:1804 ; 4-byte Folded Reload
	;; [unrolled: 1-line block ×4, first 2 shown]
	s_waitcnt lgkmcnt(0)
	; wave barrier
	s_waitcnt vmcnt(0) lgkmcnt(0)
	v_mul_f64 v[208:209], v[130:131], v[126:127]
	v_fmac_f64_e32 v[208:209], v[128:129], v[124:125]
	v_mul_f64 v[124:125], v[130:131], v[124:125]
	v_fma_f64 v[210:211], v[128:129], v[126:127], -v[124:125]
	v_accvgpr_read_b32 v124, a232
	v_accvgpr_read_b32 v126, a234
	v_accvgpr_read_b32 v127, a235
	v_accvgpr_read_b32 v125, a233
	v_mul_f64 v[156:157], v[126:127], v[122:123]
	v_fmac_f64_e32 v[156:157], v[124:125], v[120:121]
	v_mul_f64 v[120:121], v[126:127], v[120:121]
	v_fma_f64 v[158:159], v[124:125], v[122:123], -v[120:121]
	v_accvgpr_read_b32 v120, a228
	v_accvgpr_read_b32 v122, a230
	v_accvgpr_read_b32 v123, a231
	v_accvgpr_read_b32 v121, a229
	;; [unrolled: 8-line block ×24, first 2 shown]
	v_mul_f64 v[148:149], v[14:15], v[10:11]
	v_fmac_f64_e32 v[148:149], v[12:13], v[8:9]
	v_mul_f64 v[8:9], v[14:15], v[8:9]
	v_fma_f64 v[150:151], v[12:13], v[10:11], -v[8:9]
	v_add_f64 v[8:9], v[230:231], v[248:249]
	v_add_f64 v[16:17], v[226:227], v[240:241]
	;; [unrolled: 1-line block ×8, first 2 shown]
	v_add_f64 v[44:45], v[16:17], -v[8:9]
	v_add_f64 v[8:9], v[8:9], -v[24:25]
	;; [unrolled: 1-line block ×3, first 2 shown]
	v_add_f64 v[24:25], v[24:25], v[40:41]
	v_add_f64 v[20:21], v[226:227], -v[240:241]
	v_add_f64 v[28:29], v[236:237], -v[224:225]
	;; [unrolled: 1-line block ×5, first 2 shown]
	v_add_f64 v[26:27], v[26:27], v[42:43]
	v_add_f64 v[0:1], v[0:1], v[24:25]
	v_add_f64 v[12:13], v[230:231], -v[248:249]
	v_add_f64 v[14:15], v[234:235], -v[250:251]
	v_add_f64 v[22:23], v[232:233], -v[242:243]
	v_add_f64 v[30:31], v[238:239], -v[228:229]
	v_add_f64 v[52:53], v[28:29], v[20:21]
	v_add_f64 v[60:61], v[28:29], -v[20:21]
	v_add_f64 v[2:3], v[2:3], v[26:27]
	v_pk_mov_b32 v[64:65], v[0:1], v[0:1] op_sel:[0,1]
	v_add_f64 v[54:55], v[30:31], v[22:23]
	v_add_f64 v[62:63], v[30:31], -v[22:23]
	v_add_f64 v[28:29], v[12:13], -v[28:29]
	;; [unrolled: 1-line block ×4, first 2 shown]
	v_add_f64 v[12:13], v[52:53], v[12:13]
	v_mul_f64 v[8:9], v[8:9], s[22:23]
	v_mul_f64 v[10:11], v[10:11], s[22:23]
	v_mul_f64 v[40:41], v[16:17], s[4:5]
	v_mul_f64 v[42:43], v[18:19], s[4:5]
	v_mul_f64 v[52:53], v[60:61], s[24:25]
	v_fmac_f64_e32 v[64:65], s[20:21], v[24:25]
	v_pk_mov_b32 v[24:25], v[2:3], v[2:3] op_sel:[0,1]
	v_add_f64 v[30:31], v[14:15], -v[30:31]
	v_add_f64 v[14:15], v[54:55], v[14:15]
	v_mul_f64 v[54:55], v[62:63], s[24:25]
	v_mul_f64 v[60:61], v[20:21], s[26:27]
	;; [unrolled: 1-line block ×3, first 2 shown]
	v_fmac_f64_e32 v[24:25], s[20:21], v[26:27]
	v_fma_f64 v[26:27], v[44:45], s[8:9], -v[40:41]
	v_fma_f64 v[40:41], v[46:47], s[8:9], -v[42:43]
	;; [unrolled: 1-line block ×3, first 2 shown]
	v_fmac_f64_e32 v[8:9], s[4:5], v[16:17]
	v_fma_f64 v[16:17], v[46:47], s[16:17], -v[10:11]
	v_fmac_f64_e32 v[10:11], s[4:5], v[18:19]
	v_fma_f64 v[18:19], v[20:21], s[6:7], -v[52:53]
	;; [unrolled: 2-line block ×3, first 2 shown]
	v_fmac_f64_e32 v[54:55], s[18:19], v[30:31]
	v_fmac_f64_e32 v[60:61], s[14:15], v[28:29]
	;; [unrolled: 1-line block ×3, first 2 shown]
	v_add_f64 v[10:11], v[10:11], v[24:25]
	v_add_f64 v[40:41], v[40:41], v[24:25]
	v_fmac_f64_e32 v[52:53], s[2:3], v[12:13]
	v_fmac_f64_e32 v[18:19], s[2:3], v[12:13]
	v_add_f64 v[8:9], v[8:9], v[64:65]
	v_add_f64 v[46:47], v[26:27], v[64:65]
	;; [unrolled: 1-line block ×4, first 2 shown]
	v_fmac_f64_e32 v[54:55], s[2:3], v[14:15]
	v_fmac_f64_e32 v[60:61], s[2:3], v[12:13]
	;; [unrolled: 1-line block ×3, first 2 shown]
	v_add_f64 v[26:27], v[10:11], -v[52:53]
	v_add_f64 v[22:23], v[18:19], v[40:41]
	v_add_f64 v[18:19], v[40:41], -v[18:19]
	v_add_f64 v[10:11], v[52:53], v[10:11]
	v_add_f64 v[40:41], v[176:177], v[154:155]
	;; [unrolled: 1-line block ×3, first 2 shown]
	v_fmac_f64_e32 v[44:45], s[2:3], v[14:15]
	v_add_f64 v[24:25], v[54:55], v[8:9]
	v_add_f64 v[28:29], v[62:63], v[42:43]
	v_add_f64 v[30:31], v[64:65], -v[60:61]
	v_add_f64 v[12:13], v[42:43], -v[62:63]
	v_add_f64 v[14:15], v[60:61], v[64:65]
	v_add_f64 v[8:9], v[8:9], -v[54:55]
	v_add_f64 v[42:43], v[178:179], v[222:223]
	v_add_f64 v[54:55], v[212:213], v[152:153]
	v_add_f64 v[60:61], v[192:193], -v[220:221]
	v_add_f64 v[64:65], v[194:195], v[216:217]
	v_add_f64 v[68:69], v[216:217], -v[194:195]
	;; [unrolled: 2-line block ×4, first 2 shown]
	v_add_f64 v[62:63], v[212:213], -v[152:153]
	v_add_f64 v[66:67], v[214:215], v[218:219]
	v_add_f64 v[70:71], v[218:219], -v[214:215]
	v_add_f64 v[74:75], v[54:55], v[42:43]
	v_add_f64 v[152:153], v[52:53], -v[40:41]
	v_add_f64 v[40:41], v[40:41], -v[64:65]
	;; [unrolled: 1-line block ×3, first 2 shown]
	v_add_f64 v[176:177], v[68:69], v[60:61]
	v_add_f64 v[64:65], v[64:65], v[72:73]
	v_add_f64 v[46:47], v[178:179], -v[222:223]
	v_add_f64 v[154:155], v[54:55], -v[42:43]
	;; [unrolled: 1-line block ×4, first 2 shown]
	v_add_f64 v[178:179], v[70:71], v[62:63]
	v_add_f64 v[192:193], v[68:69], -v[60:61]
	v_add_f64 v[68:69], v[44:45], -v[68:69]
	v_add_f64 v[60:61], v[60:61], -v[44:45]
	v_add_f64 v[66:67], v[66:67], v[74:75]
	v_add_f64 v[44:45], v[176:177], v[44:45]
	;; [unrolled: 1-line block ×3, first 2 shown]
	v_add_f64 v[194:195], v[70:71], -v[62:63]
	v_add_f64 v[70:71], v[46:47], -v[70:71]
	;; [unrolled: 1-line block ×3, first 2 shown]
	v_add_f64 v[46:47], v[178:179], v[46:47]
	v_add_f64 v[178:179], v[38:39], v[66:67]
	v_pk_mov_b32 v[212:213], v[176:177], v[176:177] op_sel:[0,1]
	v_mul_f64 v[36:37], v[40:41], s[22:23]
	v_mul_f64 v[38:39], v[42:43], s[22:23]
	;; [unrolled: 1-line block ×4, first 2 shown]
	v_fmac_f64_e32 v[212:213], s[20:21], v[64:65]
	v_pk_mov_b32 v[64:65], v[178:179], v[178:179] op_sel:[0,1]
	v_mul_f64 v[40:41], v[52:53], s[4:5]
	v_mul_f64 v[42:43], v[54:55], s[4:5]
	v_mul_f64 v[72:73], v[192:193], s[24:25]
	v_mul_f64 v[192:193], v[62:63], s[26:27]
	v_fmac_f64_e32 v[64:65], s[20:21], v[66:67]
	v_fma_f64 v[66:67], v[152:153], s[16:17], -v[36:37]
	v_fmac_f64_e32 v[36:37], s[4:5], v[52:53]
	v_fma_f64 v[52:53], v[154:155], s[16:17], -v[38:39]
	;; [unrolled: 2-line block ×5, first 2 shown]
	v_fmac_f64_e32 v[74:75], s[18:19], v[70:71]
	v_fmac_f64_e32 v[192:193], s[14:15], v[70:71]
	v_add_f64 v[52:53], v[52:53], v[64:65]
	v_fmac_f64_e32 v[194:195], s[2:3], v[44:45]
	v_fma_f64 v[40:41], v[152:153], s[8:9], -v[40:41]
	v_add_f64 v[62:63], v[36:37], v[212:213]
	v_add_f64 v[68:69], v[38:39], v[64:65]
	;; [unrolled: 1-line block ×4, first 2 shown]
	v_fmac_f64_e32 v[72:73], s[2:3], v[44:45]
	v_fmac_f64_e32 v[74:75], s[2:3], v[46:47]
	;; [unrolled: 1-line block ×4, first 2 shown]
	v_add_f64 v[42:43], v[52:53], -v[194:195]
	v_add_f64 v[194:195], v[194:195], v[52:53]
	v_add_f64 v[52:53], v[184:185], v[208:209]
	;; [unrolled: 1-line block ×4, first 2 shown]
	v_fmac_f64_e32 v[60:61], s[2:3], v[46:47]
	v_add_f64 v[36:37], v[74:75], v[62:63]
	v_add_f64 v[38:39], v[68:69], -v[72:73]
	v_add_f64 v[40:41], v[192:193], v[66:67]
	v_add_f64 v[46:47], v[54:55], v[152:153]
	v_add_f64 v[226:227], v[152:153], -v[54:55]
	v_add_f64 v[192:193], v[66:67], -v[192:193]
	;; [unrolled: 1-line block ×3, first 2 shown]
	v_add_f64 v[154:155], v[72:73], v[68:69]
	v_add_f64 v[54:55], v[188:189], v[210:211]
	v_add_f64 v[62:63], v[188:189], -v[210:211]
	v_add_f64 v[66:67], v[190:191], v[206:207]
	v_add_f64 v[72:73], v[244:245], v[200:201]
	;; [unrolled: 1-line block ×3, first 2 shown]
	v_add_f64 v[44:45], v[70:71], -v[60:61]
	v_add_f64 v[224:225], v[60:61], v[70:71]
	v_add_f64 v[68:69], v[186:187], -v[204:205]
	v_add_f64 v[70:71], v[190:191], -v[206:207]
	v_add_f64 v[74:75], v[198:199], v[202:203]
	v_add_f64 v[186:187], v[202:203], -v[198:199]
	v_add_f64 v[190:191], v[66:67], v[54:55]
	v_add_f64 v[198:199], v[64:65], -v[52:53]
	v_add_f64 v[52:53], v[52:53], -v[72:73]
	;; [unrolled: 1-line block ×3, first 2 shown]
	v_add_f64 v[72:73], v[72:73], v[188:189]
	v_add_f64 v[60:61], v[184:185], -v[208:209]
	v_add_f64 v[184:185], v[200:201], -v[244:245]
	;; [unrolled: 1-line block ×5, first 2 shown]
	v_add_f64 v[74:75], v[74:75], v[190:191]
	v_add_f64 v[48:49], v[48:49], v[72:73]
	;; [unrolled: 1-line block ×3, first 2 shown]
	v_add_f64 v[206:207], v[184:185], -v[68:69]
	v_add_f64 v[68:69], v[68:69], -v[60:61]
	v_add_f64 v[50:51], v[50:51], v[74:75]
	v_pk_mov_b32 v[210:211], v[48:49], v[48:49] op_sel:[0,1]
	v_add_f64 v[204:205], v[186:187], v[70:71]
	v_add_f64 v[208:209], v[186:187], -v[70:71]
	v_add_f64 v[184:185], v[60:61], -v[184:185]
	v_add_f64 v[60:61], v[202:203], v[60:61]
	v_mul_f64 v[52:53], v[52:53], s[22:23]
	v_mul_f64 v[54:55], v[54:55], s[22:23]
	;; [unrolled: 1-line block ×6, first 2 shown]
	v_fmac_f64_e32 v[210:211], s[20:21], v[72:73]
	v_pk_mov_b32 v[72:73], v[50:51], v[50:51] op_sel:[0,1]
	v_add_f64 v[186:187], v[62:63], -v[186:187]
	v_add_f64 v[70:71], v[70:71], -v[62:63]
	v_add_f64 v[62:63], v[204:205], v[62:63]
	v_mul_f64 v[204:205], v[208:209], s[24:25]
	v_fmac_f64_e32 v[72:73], s[20:21], v[74:75]
	v_fma_f64 v[74:75], v[198:199], s[8:9], -v[188:189]
	v_fma_f64 v[188:189], v[200:201], s[8:9], -v[190:191]
	;; [unrolled: 1-line block ×3, first 2 shown]
	v_fmac_f64_e32 v[52:53], s[4:5], v[64:65]
	v_fma_f64 v[64:65], v[200:201], s[16:17], -v[54:55]
	v_fmac_f64_e32 v[206:207], s[14:15], v[184:185]
	v_mul_f64 v[208:209], v[70:71], s[26:27]
	v_fmac_f64_e32 v[54:55], s[4:5], v[66:67]
	v_fma_f64 v[66:67], v[68:69], s[6:7], -v[202:203]
	v_fma_f64 v[68:69], v[70:71], s[6:7], -v[204:205]
	v_add_f64 v[64:65], v[64:65], v[72:73]
	v_fmac_f64_e32 v[206:207], s[2:3], v[60:61]
	v_fmac_f64_e32 v[202:203], s[18:19], v[184:185]
	;; [unrolled: 1-line block ×4, first 2 shown]
	v_add_f64 v[184:185], v[54:55], v[72:73]
	v_add_f64 v[74:75], v[74:75], v[210:211]
	;; [unrolled: 1-line block ×3, first 2 shown]
	v_fmac_f64_e32 v[66:67], s[2:3], v[60:61]
	v_fmac_f64_e32 v[68:69], s[2:3], v[62:63]
	v_add_f64 v[254:255], v[64:65], -v[206:207]
	v_add_f64 v[230:231], v[206:207], v[64:65]
	v_add_f64 v[64:65], v[156:157], v[180:181]
	;; [unrolled: 1-line block ×4, first 2 shown]
	v_fmac_f64_e32 v[204:205], s[2:3], v[62:63]
	v_add_f64 v[240:241], v[74:75], -v[68:69]
	v_add_f64 v[242:243], v[66:67], v[186:187]
	v_add_f64 v[232:233], v[68:69], v[74:75]
	v_add_f64 v[234:235], v[186:187], -v[66:67]
	v_add_f64 v[66:67], v[158:159], v[182:183]
	v_add_f64 v[68:69], v[156:157], -v[180:181]
	;; [unrolled: 2-line block ×4, first 2 shown]
	v_add_f64 v[168:169], v[72:73], v[64:65]
	v_fmac_f64_e32 v[202:203], s[2:3], v[60:61]
	v_add_f64 v[52:53], v[204:205], v[70:71]
	v_add_f64 v[60:61], v[70:71], -v[204:205]
	v_add_f64 v[70:71], v[158:159], -v[182:183]
	;; [unrolled: 1-line block ×3, first 2 shown]
	v_add_f64 v[164:165], v[166:167], v[170:171]
	v_add_f64 v[166:167], v[170:171], -v[166:167]
	v_add_f64 v[170:171], v[74:75], v[66:67]
	v_add_f64 v[172:173], v[72:73], -v[64:65]
	v_add_f64 v[64:65], v[64:65], -v[160:161]
	;; [unrolled: 1-line block ×3, first 2 shown]
	v_add_f64 v[160:161], v[160:161], v[168:169]
	v_fmac_f64_e32 v[208:209], s[2:3], v[62:63]
	v_add_f64 v[54:55], v[184:185], -v[202:203]
	v_add_f64 v[62:63], v[202:203], v[184:185]
	v_add_f64 v[174:175], v[74:75], -v[66:67]
	v_add_f64 v[66:67], v[66:67], -v[164:165]
	;; [unrolled: 1-line block ×3, first 2 shown]
	v_add_f64 v[180:181], v[162:163], v[156:157]
	v_add_f64 v[184:185], v[162:163], -v[156:157]
	v_add_f64 v[164:165], v[164:165], v[170:171]
	v_add_f64 v[32:33], v[32:33], v[160:161]
	;; [unrolled: 1-line block ×4, first 2 shown]
	v_add_f64 v[186:187], v[166:167], -v[158:159]
	v_add_f64 v[162:163], v[68:69], -v[162:163]
	;; [unrolled: 1-line block ×3, first 2 shown]
	v_add_f64 v[68:69], v[180:181], v[68:69]
	v_add_f64 v[34:35], v[34:35], v[164:165]
	v_mul_f64 v[180:181], v[184:185], s[24:25]
	v_pk_mov_b32 v[184:185], v[32:33], v[32:33] op_sel:[0,1]
	v_add_f64 v[252:253], v[208:209], v[188:189]
	v_add_f64 v[228:229], v[188:189], -v[208:209]
	v_add_f64 v[166:167], v[70:71], -v[166:167]
	;; [unrolled: 1-line block ×3, first 2 shown]
	v_add_f64 v[70:71], v[182:183], v[70:71]
	v_mul_f64 v[64:65], v[64:65], s[22:23]
	v_mul_f64 v[66:67], v[66:67], s[22:23]
	;; [unrolled: 1-line block ×6, first 2 shown]
	v_fmac_f64_e32 v[184:185], s[20:21], v[160:161]
	v_pk_mov_b32 v[160:161], v[34:35], v[34:35] op_sel:[0,1]
	v_mul_f64 v[190:191], v[158:159], s[26:27]
	v_fmac_f64_e32 v[160:161], s[20:21], v[164:165]
	v_fma_f64 v[164:165], v[172:173], s[8:9], -v[168:169]
	v_fma_f64 v[168:169], v[174:175], s[8:9], -v[170:171]
	;; [unrolled: 1-line block ×3, first 2 shown]
	v_fmac_f64_e32 v[64:65], s[4:5], v[72:73]
	v_fma_f64 v[72:73], v[174:175], s[16:17], -v[66:67]
	v_fmac_f64_e32 v[66:67], s[4:5], v[74:75]
	v_fma_f64 v[172:173], v[158:159], s[6:7], -v[182:183]
	v_fmac_f64_e32 v[182:183], s[18:19], v[166:167]
	v_fmac_f64_e32 v[188:189], s[14:15], v[162:163]
	v_fma_f64 v[74:75], v[156:157], s[6:7], -v[180:181]
	v_fmac_f64_e32 v[180:181], s[18:19], v[162:163]
	v_fmac_f64_e32 v[190:191], s[14:15], v[166:167]
	v_add_f64 v[162:163], v[64:65], v[184:185]
	v_add_f64 v[174:175], v[66:67], v[160:161]
	;; [unrolled: 1-line block ×4, first 2 shown]
	v_fmac_f64_e32 v[182:183], s[2:3], v[70:71]
	v_fmac_f64_e32 v[188:189], s[2:3], v[68:69]
	v_add_f64 v[160:161], v[104:105], v[140:141]
	v_add_f64 v[104:105], v[104:105], -v[140:141]
	v_add_f64 v[140:141], v[106:107], v[132:133]
	v_add_f64 v[64:65], v[164:165], v[184:185]
	;; [unrolled: 1-line block ×3, first 2 shown]
	v_fmac_f64_e32 v[172:173], s[2:3], v[70:71]
	v_fmac_f64_e32 v[190:191], s[2:3], v[70:71]
	v_add_f64 v[184:185], v[182:183], v[162:163]
	v_add_f64 v[166:167], v[72:73], -v[188:189]
	v_add_f64 v[70:71], v[188:189], v[72:73]
	v_add_f64 v[72:73], v[162:163], -v[182:183]
	;; [unrolled: 2-line block ×5, first 2 shown]
	v_add_f64 v[128:129], v[140:141], v[160:161]
	v_fmac_f64_e32 v[180:181], s[2:3], v[68:69]
	v_fmac_f64_e32 v[74:75], s[2:3], v[68:69]
	v_add_f64 v[156:157], v[64:65], -v[172:173]
	v_add_f64 v[64:65], v[172:173], v[64:65]
	v_add_f64 v[114:115], v[114:115], -v[134:135]
	v_add_f64 v[134:135], v[122:123], v[130:131]
	v_add_f64 v[122:123], v[130:131], -v[122:123]
	v_add_f64 v[130:131], v[142:143], v[162:163]
	v_add_f64 v[172:173], v[120:121], v[106:107]
	v_add_f64 v[128:129], v[132:133], v[128:129]
	v_add_f64 v[186:187], v[174:175], -v[180:181]
	v_add_f64 v[164:165], v[190:191], v[168:169]
	v_add_f64 v[158:159], v[74:75], v[66:67]
	v_add_f64 v[66:67], v[66:67], -v[74:75]
	v_add_f64 v[68:69], v[168:169], -v[190:191]
	v_add_f64 v[74:75], v[180:181], v[174:175]
	v_add_f64 v[168:169], v[140:141], -v[160:161]
	v_add_f64 v[160:161], v[160:161], -v[132:133]
	;; [unrolled: 1-line block ×7, first 2 shown]
	v_add_f64 v[130:131], v[134:135], v[130:131]
	v_add_f64 v[132:133], v[172:173], v[104:105]
	v_add_f64 v[104:105], v[76:77], v[128:129]
	v_add_f64 v[170:171], v[142:143], -v[162:163]
	v_add_f64 v[162:163], v[162:163], -v[134:135]
	;; [unrolled: 1-line block ×3, first 2 shown]
	v_add_f64 v[174:175], v[122:123], v[114:115]
	v_add_f64 v[114:115], v[114:115], -v[112:113]
	v_add_f64 v[106:107], v[78:79], v[130:131]
	v_mul_f64 v[172:173], v[182:183], s[24:25]
	v_pk_mov_b32 v[182:183], v[104:105], v[104:105] op_sel:[0,1]
	v_add_f64 v[122:123], v[112:113], -v[122:123]
	v_mul_f64 v[76:77], v[160:161], s[22:23]
	v_mul_f64 v[78:79], v[162:163], s[22:23]
	;; [unrolled: 1-line block ×6, first 2 shown]
	v_fmac_f64_e32 v[182:183], s[20:21], v[128:129]
	v_pk_mov_b32 v[128:129], v[106:107], v[106:107] op_sel:[0,1]
	v_add_f64 v[112:113], v[174:175], v[112:113]
	v_mul_f64 v[174:175], v[188:189], s[26:27]
	v_fmac_f64_e32 v[128:129], s[20:21], v[130:131]
	v_fma_f64 v[130:131], v[168:169], s[8:9], -v[134:135]
	v_fma_f64 v[134:135], v[170:171], s[8:9], -v[160:161]
	;; [unrolled: 1-line block ×3, first 2 shown]
	v_fmac_f64_e32 v[180:181], s[14:15], v[122:123]
	v_fmac_f64_e32 v[76:77], s[4:5], v[140:141]
	v_fma_f64 v[140:141], v[170:171], s[16:17], -v[78:79]
	v_fmac_f64_e32 v[78:79], s[4:5], v[142:143]
	v_fma_f64 v[168:169], v[188:189], s[6:7], -v[162:163]
	;; [unrolled: 2-line block ×3, first 2 shown]
	v_fmac_f64_e32 v[172:173], s[18:19], v[122:123]
	v_fmac_f64_e32 v[174:175], s[14:15], v[120:121]
	v_add_f64 v[160:161], v[160:161], v[182:183]
	v_fmac_f64_e32 v[180:181], s[2:3], v[112:113]
	v_add_f64 v[78:79], v[78:79], v[128:129]
	v_fmac_f64_e32 v[162:163], s[2:3], v[132:133]
	v_fmac_f64_e32 v[172:173], s[2:3], v[112:113]
	;; [unrolled: 1-line block ×5, first 2 shown]
	v_add_f64 v[132:133], v[180:181], v[160:161]
	v_add_f64 v[112:113], v[160:161], -v[180:181]
	v_add_f64 v[160:161], v[80:81], v[100:101]
	v_add_f64 v[80:81], v[80:81], -v[100:101]
	;; [unrolled: 2-line block ×3, first 2 shown]
	v_add_f64 v[78:79], v[162:163], v[78:79]
	v_add_f64 v[162:163], v[82:83], v[102:103]
	v_add_f64 v[82:83], v[82:83], -v[102:103]
	v_add_f64 v[102:103], v[88:89], v[98:99]
	v_add_f64 v[84:85], v[84:85], -v[96:97]
	;; [unrolled: 2-line block ×5, first 2 shown]
	v_add_f64 v[94:95], v[102:103], v[162:163]
	v_add_f64 v[92:93], v[96:97], v[92:93]
	;; [unrolled: 1-line block ×7, first 2 shown]
	v_add_f64 v[134:135], v[170:171], -v[174:175]
	v_add_f64 v[128:129], v[120:121], -v[114:115]
	v_add_f64 v[130:131], v[168:169], v[122:123]
	v_add_f64 v[120:121], v[114:115], v[120:121]
	v_add_f64 v[122:123], v[122:123], -v[168:169]
	v_add_f64 v[114:115], v[174:175], v[170:171]
	v_add_f64 v[168:169], v[100:101], -v[160:161]
	v_add_f64 v[170:171], v[102:103], -v[162:163]
	;; [unrolled: 1-line block ×6, first 2 shown]
	v_add_f64 v[58:59], v[58:59], v[94:95]
	v_pk_mov_b32 v[188:189], v[56:57], v[56:57] op_sel:[0,1]
	v_mul_f64 v[96:97], v[160:161], s[22:23]
	v_mul_f64 v[98:99], v[162:163], s[22:23]
	;; [unrolled: 1-line block ×4, first 2 shown]
	v_fmac_f64_e32 v[188:189], s[20:21], v[92:93]
	v_pk_mov_b32 v[92:93], v[58:59], v[58:59] op_sel:[0,1]
	v_add_f64 v[76:77], v[76:77], v[182:183]
	v_fmac_f64_e32 v[92:93], s[20:21], v[94:95]
	v_fma_f64 v[94:95], v[168:169], s[8:9], -v[160:161]
	v_fma_f64 v[160:161], v[170:171], s[8:9], -v[162:163]
	;; [unrolled: 1-line block ×3, first 2 shown]
	v_fmac_f64_e32 v[96:97], s[4:5], v[100:101]
	v_add_f64 v[140:141], v[172:173], v[76:77]
	v_add_f64 v[76:77], v[76:77], -v[172:173]
	v_add_f64 v[172:173], v[86:87], v[84:85]
	v_add_f64 v[174:175], v[90:91], v[88:89]
	v_add_f64 v[180:181], v[86:87], -v[84:85]
	v_add_f64 v[182:183], v[90:91], -v[88:89]
	;; [unrolled: 1-line block ×4, first 2 shown]
	v_fma_f64 v[100:101], v[170:171], s[16:17], -v[98:99]
	v_fmac_f64_e32 v[98:99], s[4:5], v[102:103]
	v_add_f64 v[170:171], v[96:97], v[188:189]
	v_add_f64 v[96:97], v[160:161], v[92:93]
	;; [unrolled: 1-line block ×3, first 2 shown]
	v_add_f64 v[108:109], v[108:109], -v[148:149]
	v_add_f64 v[148:149], v[110:111], v[144:145]
	v_add_f64 v[86:87], v[80:81], -v[86:87]
	v_add_f64 v[90:91], v[82:83], -v[90:91]
	v_add_f64 v[80:81], v[172:173], v[80:81]
	v_add_f64 v[82:83], v[174:175], v[82:83]
	v_mul_f64 v[172:173], v[180:181], s[24:25]
	v_mul_f64 v[174:175], v[182:183], s[24:25]
	;; [unrolled: 1-line block ×4, first 2 shown]
	v_add_f64 v[190:191], v[98:99], v[92:93]
	v_add_f64 v[98:99], v[162:163], v[188:189]
	;; [unrolled: 1-line block ×3, first 2 shown]
	v_add_f64 v[116:117], v[116:117], -v[150:151]
	v_add_f64 v[150:151], v[124:125], v[146:147]
	v_add_f64 v[110:111], v[110:111], -v[144:145]
	v_add_f64 v[144:145], v[118:119], v[136:137]
	v_add_f64 v[118:119], v[136:137], -v[118:119]
	v_add_f64 v[136:137], v[148:149], v[160:161]
	v_fma_f64 v[102:103], v[84:85], s[6:7], -v[172:173]
	v_fma_f64 v[168:169], v[88:89], s[6:7], -v[174:175]
	v_fmac_f64_e32 v[174:175], s[18:19], v[90:91]
	v_fmac_f64_e32 v[180:181], s[14:15], v[86:87]
	;; [unrolled: 1-line block ×3, first 2 shown]
	v_add_f64 v[124:125], v[124:125], -v[146:147]
	v_add_f64 v[146:147], v[126:127], v[138:139]
	v_add_f64 v[126:127], v[138:139], -v[126:127]
	v_add_f64 v[138:139], v[150:151], v[162:163]
	v_add_f64 v[136:137], v[144:145], v[136:137]
	v_fmac_f64_e32 v[172:173], s[18:19], v[86:87]
	v_add_f64 v[94:95], v[94:95], v[188:189]
	v_add_f64 v[100:101], v[100:101], v[92:93]
	v_fmac_f64_e32 v[174:175], s[2:3], v[82:83]
	v_fmac_f64_e32 v[102:103], s[2:3], v[80:81]
	;; [unrolled: 1-line block ×5, first 2 shown]
	v_add_f64 v[138:139], v[146:147], v[138:139]
	v_add_f64 v[4:5], v[4:5], v[136:137]
	v_fmac_f64_e32 v[172:173], s[2:3], v[80:81]
	v_add_f64 v[88:89], v[174:175], v[170:171]
	v_add_f64 v[80:81], v[182:183], v[98:99]
	v_add_f64 v[82:83], v[100:101], -v[180:181]
	v_add_f64 v[84:85], v[94:95], -v[168:169]
	v_add_f64 v[86:87], v[102:103], v[96:97]
	v_add_f64 v[92:93], v[168:169], v[94:95]
	v_add_f64 v[94:95], v[96:97], -v[102:103]
	v_add_f64 v[96:97], v[98:99], -v[182:183]
	v_add_f64 v[98:99], v[180:181], v[100:101]
	v_add_f64 v[100:101], v[170:171], -v[174:175]
	v_add_f64 v[168:169], v[148:149], -v[160:161]
	;; [unrolled: 1-line block ×7, first 2 shown]
	v_add_f64 v[6:7], v[6:7], v[138:139]
	v_pk_mov_b32 v[188:189], v[4:5], v[4:5] op_sel:[0,1]
	v_mul_f64 v[144:145], v[160:161], s[22:23]
	v_mul_f64 v[146:147], v[162:163], s[22:23]
	;; [unrolled: 1-line block ×4, first 2 shown]
	v_fmac_f64_e32 v[188:189], s[20:21], v[136:137]
	v_pk_mov_b32 v[136:137], v[6:7], v[6:7] op_sel:[0,1]
	v_fmac_f64_e32 v[136:137], s[20:21], v[138:139]
	v_fma_f64 v[138:139], v[168:169], s[8:9], -v[160:161]
	v_fma_f64 v[160:161], v[170:171], s[8:9], -v[162:163]
	;; [unrolled: 1-line block ×3, first 2 shown]
	v_fmac_f64_e32 v[144:145], s[4:5], v[148:149]
	v_fma_f64 v[148:149], v[170:171], s[16:17], -v[146:147]
	v_add_f64 v[170:171], v[144:145], v[188:189]
	v_add_f64 v[144:145], v[160:161], v[136:137]
	v_accvgpr_read_b32 v160, a64
	ds_write_b128 v160, v[0:3]
	ds_write_b128 v160, v[24:27] offset:112
	ds_write_b128 v160, v[28:31] offset:224
	ds_write_b128 v160, v[20:23] offset:336
	ds_write_b128 v160, v[16:19] offset:448
	ds_write_b128 v160, v[12:15] offset:560
	ds_write_b128 v160, v[8:11] offset:672
	buffer_load_dword v0, off, s[40:43], 0 offset:1764 ; 4-byte Folded Reload
	s_waitcnt vmcnt(0)
	ds_write_b128 v0, v[176:179]
	ds_write_b128 v0, v[36:39] offset:112
	ds_write_b128 v0, v[40:43] offset:224
	ds_write_b128 v0, v[44:47] offset:336
	ds_write_b128 v0, v[224:227] offset:448
	ds_write_b128 v0, v[192:195] offset:560
	ds_write_b128 v0, v[152:155] offset:672
	buffer_load_dword v0, off, s[40:43], 0 offset:1756 ; 4-byte Folded Reload
	s_waitcnt vmcnt(0)
	;; [unrolled: 9-line block ×4, first 2 shown]
	ds_write_b128 v0, v[104:107]
	ds_write_b128 v0, v[140:143] offset:112
	ds_write_b128 v0, v[132:135] offset:224
	;; [unrolled: 1-line block ×6, first 2 shown]
	buffer_load_dword v0, off, s[40:43], 0 offset:876 ; 4-byte Folded Reload
	v_add_f64 v[90:91], v[190:191], -v[172:173]
	v_add_f64 v[102:103], v[172:173], v[190:191]
	s_waitcnt vmcnt(0)
	ds_write_b128 v0, v[56:59]
	ds_write_b128 v0, v[88:91] offset:112
	ds_write_b128 v0, v[80:83] offset:224
	;; [unrolled: 1-line block ×6, first 2 shown]
	buffer_load_dword v0, off, s[40:43], 0 offset:776 ; 4-byte Folded Reload
	v_add_f64 v[172:173], v[118:119], v[110:111]
	v_add_f64 v[174:175], v[126:127], v[124:125]
	v_add_f64 v[180:181], v[118:119], -v[110:111]
	v_add_f64 v[182:183], v[126:127], -v[124:125]
	v_add_f64 v[110:111], v[110:111], -v[108:109]
	v_add_f64 v[124:125], v[124:125], -v[116:117]
	v_add_f64 v[118:119], v[108:109], -v[118:119]
	v_add_f64 v[126:127], v[116:117], -v[126:127]
	v_add_f64 v[108:109], v[172:173], v[108:109]
	v_add_f64 v[116:117], v[174:175], v[116:117]
	v_mul_f64 v[172:173], v[180:181], s[24:25]
	v_mul_f64 v[174:175], v[182:183], s[24:25]
	v_mul_f64 v[180:181], v[110:111], s[26:27]
	v_mul_f64 v[182:183], v[124:125], s[26:27]
	v_fmac_f64_e32 v[146:147], s[4:5], v[150:151]
	v_fma_f64 v[150:151], v[110:111], s[6:7], -v[172:173]
	v_fmac_f64_e32 v[172:173], s[18:19], v[118:119]
	v_fma_f64 v[168:169], v[124:125], s[6:7], -v[174:175]
	v_fmac_f64_e32 v[174:175], s[18:19], v[126:127]
	v_fmac_f64_e32 v[180:181], s[14:15], v[118:119]
	;; [unrolled: 1-line block ×3, first 2 shown]
	v_add_f64 v[190:191], v[146:147], v[136:137]
	v_add_f64 v[138:139], v[138:139], v[188:189]
	;; [unrolled: 1-line block ×4, first 2 shown]
	v_fmac_f64_e32 v[172:173], s[2:3], v[108:109]
	v_fmac_f64_e32 v[174:175], s[2:3], v[116:117]
	;; [unrolled: 1-line block ×6, first 2 shown]
	v_add_f64 v[108:109], v[174:175], v[170:171]
	v_add_f64 v[110:111], v[190:191], -v[172:173]
	v_add_f64 v[116:117], v[182:183], v[146:147]
	v_add_f64 v[118:119], v[148:149], -v[180:181]
	v_add_f64 v[124:125], v[138:139], -v[168:169]
	v_add_f64 v[126:127], v[150:151], v[144:145]
	v_add_f64 v[136:137], v[168:169], v[138:139]
	v_add_f64 v[138:139], v[144:145], -v[150:151]
	v_add_f64 v[144:145], v[146:147], -v[182:183]
	v_add_f64 v[146:147], v[180:181], v[148:149]
	v_add_f64 v[148:149], v[170:171], -v[174:175]
	v_add_f64 v[150:151], v[172:173], v[190:191]
	s_waitcnt vmcnt(0)
	ds_write_b128 v0, v[4:7]
	ds_write_b128 v0, v[108:111] offset:112
	ds_write_b128 v0, v[116:119] offset:224
	ds_write_b128 v0, v[124:127] offset:336
	ds_write_b128 v0, v[136:139] offset:448
	ds_write_b128 v0, v[144:147] offset:560
	ds_write_b128 v0, v[148:151] offset:672
	s_waitcnt lgkmcnt(0)
	; wave barrier
	s_waitcnt lgkmcnt(0)
	ds_read_b128 v[4:7], v196
	ds_read_b128 v[192:195], v196 offset:5488
	ds_read_b128 v[188:191], v196 offset:10976
	;; [unrolled: 1-line block ×48, first 2 shown]
	buffer_load_dword v198, off, s[40:43], 0 offset:1120 ; 4-byte Folded Reload
	buffer_load_dword v199, off, s[40:43], 0 offset:1124 ; 4-byte Folded Reload
	;; [unrolled: 1-line block ×4, first 2 shown]
	s_waitcnt vmcnt(0) lgkmcnt(14)
	v_mul_f64 v[232:233], v[200:201], v[194:195]
	v_fmac_f64_e32 v[232:233], v[198:199], v[192:193]
	v_mul_f64 v[192:193], v[200:201], v[192:193]
	v_fma_f64 v[234:235], v[198:199], v[194:195], -v[192:193]
	buffer_load_dword v192, off, s[40:43], 0 offset:1136 ; 4-byte Folded Reload
	buffer_load_dword v193, off, s[40:43], 0 offset:1140 ; 4-byte Folded Reload
	;; [unrolled: 1-line block ×4, first 2 shown]
	v_pk_mov_b32 v[212:213], v[200:201], v[200:201] op_sel:[0,1]
	v_pk_mov_b32 v[210:211], v[198:199], v[198:199] op_sel:[0,1]
	s_waitcnt vmcnt(0)
	v_mul_f64 v[226:227], v[194:195], v[190:191]
	v_fmac_f64_e32 v[226:227], v[192:193], v[188:189]
	v_mul_f64 v[188:189], v[194:195], v[188:189]
	v_fma_f64 v[230:231], v[192:193], v[190:191], -v[188:189]
	buffer_load_dword v188, off, s[40:43], 0 offset:1152 ; 4-byte Folded Reload
	buffer_load_dword v189, off, s[40:43], 0 offset:1156 ; 4-byte Folded Reload
	;; [unrolled: 1-line block ×4, first 2 shown]
	v_pk_mov_b32 v[204:205], v[194:195], v[194:195] op_sel:[0,1]
	v_pk_mov_b32 v[202:203], v[192:193], v[192:193] op_sel:[0,1]
	s_waitcnt vmcnt(0)
	v_mul_f64 v[220:221], v[190:191], v[186:187]
	v_fmac_f64_e32 v[220:221], v[188:189], v[184:185]
	v_mul_f64 v[184:185], v[190:191], v[184:185]
	v_fma_f64 v[222:223], v[188:189], v[186:187], -v[184:185]
	buffer_load_dword v184, off, s[40:43], 0 offset:1200 ; 4-byte Folded Reload
	buffer_load_dword v185, off, s[40:43], 0 offset:1204 ; 4-byte Folded Reload
	;; [unrolled: 1-line block ×4, first 2 shown]
	v_pk_mov_b32 v[192:193], v[190:191], v[190:191] op_sel:[0,1]
	v_pk_mov_b32 v[190:191], v[188:189], v[188:189] op_sel:[0,1]
	v_mul_f64 v[188:189], v[192:193], v[162:163]
	v_fmac_f64_e32 v[188:189], v[190:191], v[160:161]
	v_mul_f64 v[160:161], v[192:193], v[160:161]
	v_fma_f64 v[190:191], v[190:191], v[162:163], -v[160:161]
	s_waitcnt vmcnt(0)
	v_mul_f64 v[224:225], v[186:187], v[182:183]
	v_fmac_f64_e32 v[224:225], v[184:185], v[180:181]
	v_mul_f64 v[180:181], v[186:187], v[180:181]
	v_fma_f64 v[228:229], v[184:185], v[182:183], -v[180:181]
	buffer_load_dword v180, off, s[40:43], 0 offset:1216 ; 4-byte Folded Reload
	buffer_load_dword v181, off, s[40:43], 0 offset:1220 ; 4-byte Folded Reload
	;; [unrolled: 1-line block ×4, first 2 shown]
	v_pk_mov_b32 v[200:201], v[186:187], v[186:187] op_sel:[0,1]
	v_pk_mov_b32 v[198:199], v[184:185], v[184:185] op_sel:[0,1]
	v_mul_f64 v[184:185], v[204:205], v[166:167]
	v_fmac_f64_e32 v[184:185], v[202:203], v[164:165]
	v_mul_f64 v[164:165], v[204:205], v[164:165]
	v_fma_f64 v[186:187], v[202:203], v[166:167], -v[164:165]
	v_mul_f64 v[192:193], v[200:201], v[158:159]
	v_fmac_f64_e32 v[192:193], v[198:199], v[156:157]
	v_mul_f64 v[156:157], v[200:201], v[156:157]
	v_fma_f64 v[194:195], v[198:199], v[158:159], -v[156:157]
	s_waitcnt vmcnt(0)
	v_mul_f64 v[236:237], v[182:183], v[178:179]
	v_fmac_f64_e32 v[236:237], v[180:181], v[176:177]
	v_mul_f64 v[176:177], v[182:183], v[176:177]
	v_fma_f64 v[238:239], v[180:181], v[178:179], -v[176:177]
	buffer_load_dword v176, off, s[40:43], 0 offset:1248 ; 4-byte Folded Reload
	buffer_load_dword v177, off, s[40:43], 0 offset:1252 ; 4-byte Folded Reload
	;; [unrolled: 1-line block ×4, first 2 shown]
	v_pk_mov_b32 v[208:209], v[182:183], v[182:183] op_sel:[0,1]
	v_pk_mov_b32 v[206:207], v[180:181], v[180:181] op_sel:[0,1]
	v_mul_f64 v[180:181], v[212:213], v[170:171]
	v_fmac_f64_e32 v[180:181], v[210:211], v[168:169]
	v_mul_f64 v[168:169], v[212:213], v[168:169]
	v_fma_f64 v[182:183], v[210:211], v[170:171], -v[168:169]
	v_mul_f64 v[212:213], v[208:209], v[154:155]
	v_fmac_f64_e32 v[212:213], v[206:207], v[152:153]
	v_mul_f64 v[152:153], v[208:209], v[152:153]
	v_fma_f64 v[214:215], v[206:207], v[154:155], -v[152:153]
	s_waitcnt vmcnt(0)
	v_mul_f64 v[216:217], v[178:179], v[150:151]
	v_fmac_f64_e32 v[216:217], v[176:177], v[148:149]
	v_mul_f64 v[148:149], v[178:179], v[148:149]
	v_fma_f64 v[218:219], v[176:177], v[150:151], -v[148:149]
	buffer_load_dword v148, off, s[40:43], 0 offset:812 ; 4-byte Folded Reload
	buffer_load_dword v149, off, s[40:43], 0 offset:816 ; 4-byte Folded Reload
	;; [unrolled: 1-line block ×4, first 2 shown]
	v_mul_f64 v[240:241], v[178:179], v[174:175]
	v_fmac_f64_e32 v[240:241], v[176:177], v[172:173]
	v_mul_f64 v[172:173], v[178:179], v[172:173]
	v_fma_f64 v[242:243], v[176:177], v[174:175], -v[172:173]
	s_waitcnt vmcnt(0)
	v_mul_f64 v[166:167], v[150:151], v[146:147]
	v_fmac_f64_e32 v[166:167], v[148:149], v[144:145]
	v_mul_f64 v[144:145], v[150:151], v[144:145]
	v_fma_f64 v[168:169], v[148:149], v[146:147], -v[144:145]
	buffer_load_dword v144, off, s[40:43], 0 offset:828 ; 4-byte Folded Reload
	buffer_load_dword v145, off, s[40:43], 0 offset:832 ; 4-byte Folded Reload
	buffer_load_dword v146, off, s[40:43], 0 offset:836 ; 4-byte Folded Reload
	buffer_load_dword v147, off, s[40:43], 0 offset:840 ; 4-byte Folded Reload
	s_waitcnt vmcnt(0)
	v_mul_f64 v[162:163], v[146:147], v[142:143]
	v_fmac_f64_e32 v[162:163], v[144:145], v[140:141]
	v_mul_f64 v[140:141], v[146:147], v[140:141]
	v_fma_f64 v[164:165], v[144:145], v[142:143], -v[140:141]
	buffer_load_dword v140, off, s[40:43], 0 offset:844 ; 4-byte Folded Reload
	buffer_load_dword v141, off, s[40:43], 0 offset:848 ; 4-byte Folded Reload
	buffer_load_dword v142, off, s[40:43], 0 offset:852 ; 4-byte Folded Reload
	buffer_load_dword v143, off, s[40:43], 0 offset:856 ; 4-byte Folded Reload
	s_waitcnt vmcnt(0)
	v_mul_f64 v[160:161], v[142:143], v[138:139]
	v_fmac_f64_e32 v[160:161], v[140:141], v[136:137]
	v_mul_f64 v[136:137], v[142:143], v[136:137]
	v_fma_f64 v[136:137], v[140:141], v[138:139], -v[136:137]
	buffer_load_dword v140, off, s[40:43], 0 offset:880 ; 4-byte Folded Reload
	buffer_load_dword v141, off, s[40:43], 0 offset:884 ; 4-byte Folded Reload
	buffer_load_dword v142, off, s[40:43], 0 offset:888 ; 4-byte Folded Reload
	buffer_load_dword v143, off, s[40:43], 0 offset:892 ; 4-byte Folded Reload
	s_waitcnt vmcnt(0)
	v_mul_f64 v[138:139], v[142:143], v[134:135]
	v_fmac_f64_e32 v[138:139], v[140:141], v[132:133]
	v_mul_f64 v[132:133], v[142:143], v[132:133]
	v_fma_f64 v[170:171], v[140:141], v[134:135], -v[132:133]
	buffer_load_dword v132, off, s[40:43], 0 offset:944 ; 4-byte Folded Reload
	buffer_load_dword v133, off, s[40:43], 0 offset:948 ; 4-byte Folded Reload
	buffer_load_dword v134, off, s[40:43], 0 offset:952 ; 4-byte Folded Reload
	buffer_load_dword v135, off, s[40:43], 0 offset:956 ; 4-byte Folded Reload
	s_waitcnt vmcnt(0)
	v_mul_f64 v[172:173], v[134:135], v[130:131]
	v_fmac_f64_e32 v[172:173], v[132:133], v[128:129]
	v_mul_f64 v[128:129], v[134:135], v[128:129]
	v_fma_f64 v[174:175], v[132:133], v[130:131], -v[128:129]
	buffer_load_dword v128, off, s[40:43], 0 offset:960 ; 4-byte Folded Reload
	buffer_load_dword v129, off, s[40:43], 0 offset:964 ; 4-byte Folded Reload
	buffer_load_dword v130, off, s[40:43], 0 offset:968 ; 4-byte Folded Reload
	buffer_load_dword v131, off, s[40:43], 0 offset:972 ; 4-byte Folded Reload
	s_waitcnt vmcnt(0)
	v_mul_f64 v[176:177], v[130:131], v[126:127]
	v_fmac_f64_e32 v[176:177], v[128:129], v[124:125]
	v_mul_f64 v[124:125], v[130:131], v[124:125]
	v_fma_f64 v[178:179], v[128:129], v[126:127], -v[124:125]
	buffer_load_dword v124, off, s[40:43], 0 offset:1168 ; 4-byte Folded Reload
	buffer_load_dword v125, off, s[40:43], 0 offset:1172 ; 4-byte Folded Reload
	buffer_load_dword v126, off, s[40:43], 0 offset:1176 ; 4-byte Folded Reload
	buffer_load_dword v127, off, s[40:43], 0 offset:1180 ; 4-byte Folded Reload
	s_waitcnt vmcnt(0)
	v_mul_f64 v[132:133], v[126:127], v[122:123]
	v_fmac_f64_e32 v[132:133], v[124:125], v[120:121]
	v_mul_f64 v[120:121], v[126:127], v[120:121]
	v_fma_f64 v[134:135], v[124:125], v[122:123], -v[120:121]
	buffer_load_dword v120, off, s[40:43], 0 offset:1184 ; 4-byte Folded Reload
	buffer_load_dword v121, off, s[40:43], 0 offset:1188 ; 4-byte Folded Reload
	buffer_load_dword v122, off, s[40:43], 0 offset:1192 ; 4-byte Folded Reload
	buffer_load_dword v123, off, s[40:43], 0 offset:1196 ; 4-byte Folded Reload
	s_waitcnt vmcnt(0)
	v_mul_f64 v[140:141], v[122:123], v[118:119]
	v_fmac_f64_e32 v[140:141], v[120:121], v[116:117]
	v_mul_f64 v[116:117], v[122:123], v[116:117]
	v_fma_f64 v[144:145], v[120:121], v[118:119], -v[116:117]
	buffer_load_dword v116, off, s[40:43], 0 offset:1232 ; 4-byte Folded Reload
	buffer_load_dword v117, off, s[40:43], 0 offset:1236 ; 4-byte Folded Reload
	buffer_load_dword v118, off, s[40:43], 0 offset:1240 ; 4-byte Folded Reload
	buffer_load_dword v119, off, s[40:43], 0 offset:1244 ; 4-byte Folded Reload
	s_waitcnt vmcnt(0)
	v_mul_f64 v[142:143], v[118:119], v[114:115]
	v_fmac_f64_e32 v[142:143], v[116:117], v[112:113]
	v_mul_f64 v[112:113], v[118:119], v[112:113]
	v_fma_f64 v[146:147], v[116:117], v[114:115], -v[112:113]
	buffer_load_dword v112, off, s[40:43], 0 offset:1264 ; 4-byte Folded Reload
	buffer_load_dword v113, off, s[40:43], 0 offset:1268 ; 4-byte Folded Reload
	buffer_load_dword v114, off, s[40:43], 0 offset:1272 ; 4-byte Folded Reload
	buffer_load_dword v115, off, s[40:43], 0 offset:1276 ; 4-byte Folded Reload
	s_waitcnt vmcnt(0)
	v_mul_f64 v[148:149], v[114:115], v[110:111]
	v_fmac_f64_e32 v[148:149], v[112:113], v[108:109]
	v_mul_f64 v[108:109], v[114:115], v[108:109]
	v_fma_f64 v[150:151], v[112:113], v[110:111], -v[108:109]
	buffer_load_dword v108, off, s[40:43], 0 offset:1344 ; 4-byte Folded Reload
	buffer_load_dword v109, off, s[40:43], 0 offset:1348 ; 4-byte Folded Reload
	buffer_load_dword v110, off, s[40:43], 0 offset:1352 ; 4-byte Folded Reload
	buffer_load_dword v111, off, s[40:43], 0 offset:1356 ; 4-byte Folded Reload
	s_waitcnt vmcnt(0)
	v_mul_f64 v[152:153], v[110:111], v[106:107]
	v_fmac_f64_e32 v[152:153], v[108:109], v[104:105]
	v_mul_f64 v[104:105], v[110:111], v[104:105]
	v_fma_f64 v[154:155], v[108:109], v[106:107], -v[104:105]
	buffer_load_dword v104, off, s[40:43], 0 offset:1360 ; 4-byte Folded Reload
	buffer_load_dword v105, off, s[40:43], 0 offset:1364 ; 4-byte Folded Reload
	buffer_load_dword v106, off, s[40:43], 0 offset:1368 ; 4-byte Folded Reload
	buffer_load_dword v107, off, s[40:43], 0 offset:1372 ; 4-byte Folded Reload
	v_add_f64 v[108:109], v[192:193], -v[188:189]
	v_add_f64 v[110:111], v[194:195], -v[190:191]
	s_waitcnt vmcnt(0)
	v_mul_f64 v[156:157], v[106:107], v[102:103]
	v_fmac_f64_e32 v[156:157], v[104:105], v[100:101]
	v_mul_f64 v[100:101], v[106:107], v[100:101]
	v_fma_f64 v[158:159], v[104:105], v[102:103], -v[100:101]
	buffer_load_dword v102, off, s[40:43], 0 offset:1504 ; 4-byte Folded Reload
	buffer_load_dword v103, off, s[40:43], 0 offset:1508 ; 4-byte Folded Reload
	;; [unrolled: 1-line block ×4, first 2 shown]
	v_add_f64 v[106:107], v[190:191], v[194:195]
	s_waitcnt vmcnt(0)
	v_mul_f64 v[100:101], v[104:105], v[98:99]
	v_fmac_f64_e32 v[100:101], v[102:103], v[96:97]
	v_mul_f64 v[96:97], v[104:105], v[96:97]
	v_fma_f64 v[112:113], v[102:103], v[98:99], -v[96:97]
	buffer_load_dword v96, off, s[40:43], 0 offset:1520 ; 4-byte Folded Reload
	buffer_load_dword v97, off, s[40:43], 0 offset:1524 ; 4-byte Folded Reload
	buffer_load_dword v98, off, s[40:43], 0 offset:1528 ; 4-byte Folded Reload
	buffer_load_dword v99, off, s[40:43], 0 offset:1532 ; 4-byte Folded Reload
	s_waitcnt vmcnt(0)
	v_mul_f64 v[102:103], v[98:99], v[94:95]
	v_fmac_f64_e32 v[102:103], v[96:97], v[92:93]
	v_mul_f64 v[92:93], v[98:99], v[92:93]
	v_fma_f64 v[114:115], v[96:97], v[94:95], -v[92:93]
	buffer_load_dword v92, off, s[40:43], 0 offset:1536 ; 4-byte Folded Reload
	buffer_load_dword v93, off, s[40:43], 0 offset:1540 ; 4-byte Folded Reload
	buffer_load_dword v94, off, s[40:43], 0 offset:1544 ; 4-byte Folded Reload
	buffer_load_dword v95, off, s[40:43], 0 offset:1548 ; 4-byte Folded Reload
	;; [unrolled: 9-line block ×6, first 2 shown]
	s_waitcnt vmcnt(0) lgkmcnt(12)
	v_mul_f64 v[76:77], v[80:81], v[74:75]
	v_fmac_f64_e32 v[76:77], v[78:79], v[72:73]
	v_mul_f64 v[72:73], v[80:81], v[72:73]
	v_fma_f64 v[78:79], v[78:79], v[74:75], -v[72:73]
	buffer_load_dword v72, off, s[40:43], 0 offset:1840 ; 4-byte Folded Reload
	buffer_load_dword v73, off, s[40:43], 0 offset:1844 ; 4-byte Folded Reload
	;; [unrolled: 1-line block ×4, first 2 shown]
	s_waitcnt lgkmcnt(0)
	; wave barrier
	s_waitcnt vmcnt(0) lgkmcnt(0)
	v_mul_f64 v[80:81], v[74:75], v[70:71]
	v_fmac_f64_e32 v[80:81], v[72:73], v[68:69]
	v_mul_f64 v[68:69], v[74:75], v[68:69]
	v_fma_f64 v[84:85], v[72:73], v[70:71], -v[68:69]
	v_accvgpr_read_b32 v68, a252
	v_accvgpr_read_b32 v70, a254
	v_accvgpr_read_b32 v71, a255
	v_accvgpr_read_b32 v69, a253
	v_mul_f64 v[82:83], v[70:71], v[66:67]
	v_fmac_f64_e32 v[82:83], v[68:69], v[64:65]
	v_mul_f64 v[64:65], v[70:71], v[64:65]
	v_fma_f64 v[86:87], v[68:69], v[66:67], -v[64:65]
	v_accvgpr_read_b32 v64, a248
	v_accvgpr_read_b32 v66, a250
	v_accvgpr_read_b32 v67, a251
	v_accvgpr_read_b32 v65, a249
	;; [unrolled: 8-line block ×10, first 2 shown]
	v_mul_f64 v[208:209], v[22:23], v[18:19]
	v_fmac_f64_e32 v[208:209], v[20:21], v[16:17]
	v_mul_f64 v[16:17], v[22:23], v[16:17]
	v_fma_f64 v[210:211], v[20:21], v[18:19], -v[16:17]
	v_add_f64 v[16:17], v[232:233], v[240:241]
	v_add_f64 v[28:29], v[226:227], v[236:237]
	;; [unrolled: 1-line block ×8, first 2 shown]
	v_add_f64 v[64:65], v[28:29], -v[16:17]
	v_add_f64 v[16:17], v[16:17], -v[36:37]
	;; [unrolled: 1-line block ×3, first 2 shown]
	v_add_f64 v[36:37], v[36:37], v[60:61]
	v_add_f64 v[22:23], v[234:235], -v[242:243]
	v_add_f64 v[32:33], v[226:227], -v[236:237]
	;; [unrolled: 1-line block ×8, first 2 shown]
	v_add_f64 v[38:39], v[38:39], v[62:63]
	v_add_f64 v[4:5], v[4:5], v[36:37]
	v_add_f64 v[20:21], v[232:233], -v[240:241]
	v_add_f64 v[68:69], v[40:41], v[32:33]
	v_add_f64 v[70:71], v[42:43], v[34:35]
	v_add_f64 v[72:73], v[40:41], -v[32:33]
	v_add_f64 v[74:75], v[42:43], -v[34:35]
	;; [unrolled: 1-line block ×3, first 2 shown]
	v_add_f64 v[6:7], v[6:7], v[38:39]
	v_pk_mov_b32 v[104:105], v[4:5], v[4:5] op_sel:[0,1]
	v_add_f64 v[40:41], v[20:21], -v[40:41]
	v_add_f64 v[42:43], v[22:23], -v[42:43]
	;; [unrolled: 1-line block ×3, first 2 shown]
	v_add_f64 v[20:21], v[68:69], v[20:21]
	v_add_f64 v[22:23], v[70:71], v[22:23]
	v_mul_f64 v[16:17], v[16:17], s[22:23]
	v_mul_f64 v[18:19], v[18:19], s[22:23]
	;; [unrolled: 1-line block ×7, first 2 shown]
	v_fmac_f64_e32 v[104:105], s[20:21], v[36:37]
	v_pk_mov_b32 v[36:37], v[6:7], v[6:7] op_sel:[0,1]
	v_mul_f64 v[72:73], v[32:33], s[26:27]
	v_fmac_f64_e32 v[36:37], s[20:21], v[38:39]
	v_fma_f64 v[38:39], v[64:65], s[8:9], -v[60:61]
	v_fma_f64 v[60:61], v[66:67], s[8:9], -v[62:63]
	;; [unrolled: 1-line block ×3, first 2 shown]
	v_fmac_f64_e32 v[16:17], s[4:5], v[28:29]
	v_fma_f64 v[28:29], v[66:67], s[16:17], -v[18:19]
	v_fmac_f64_e32 v[18:19], s[4:5], v[30:31]
	v_fma_f64 v[64:65], v[32:33], s[6:7], -v[68:69]
	v_fmac_f64_e32 v[68:69], s[18:19], v[40:41]
	v_fmac_f64_e32 v[74:75], s[14:15], v[42:43]
	v_fma_f64 v[32:33], v[34:35], s[6:7], -v[70:71]
	v_fmac_f64_e32 v[70:71], s[18:19], v[42:43]
	v_fmac_f64_e32 v[72:73], s[14:15], v[40:41]
	v_add_f64 v[42:43], v[18:19], v[36:37]
	v_add_f64 v[34:35], v[38:39], v[104:105]
	;; [unrolled: 1-line block ×4, first 2 shown]
	v_fmac_f64_e32 v[68:69], s[2:3], v[20:21]
	v_fmac_f64_e32 v[74:75], s[2:3], v[22:23]
	v_add_f64 v[40:41], v[16:17], v[104:105]
	v_add_f64 v[62:63], v[28:29], v[36:37]
	v_fmac_f64_e32 v[70:71], s[2:3], v[22:23]
	v_fmac_f64_e32 v[64:65], s[2:3], v[20:21]
	;; [unrolled: 1-line block ×4, first 2 shown]
	v_add_f64 v[22:23], v[42:43], -v[68:69]
	v_add_f64 v[16:17], v[74:75], v[60:61]
	v_add_f64 v[36:37], v[60:61], -v[74:75]
	v_add_f64 v[42:43], v[68:69], v[42:43]
	v_add_f64 v[60:61], v[180:181], v[216:217]
	;; [unrolled: 1-line block ×4, first 2 shown]
	v_add_f64 v[18:19], v[62:63], -v[72:73]
	v_add_f64 v[28:29], v[34:35], -v[32:33]
	v_add_f64 v[30:31], v[64:65], v[38:39]
	v_add_f64 v[32:33], v[32:33], v[34:35]
	v_add_f64 v[34:35], v[38:39], -v[64:65]
	v_add_f64 v[38:39], v[72:73], v[62:63]
	v_add_f64 v[40:41], v[40:41], -v[70:71]
	;; [unrolled: 2-line block ×3, first 2 shown]
	v_add_f64 v[70:71], v[186:187], v[214:215]
	v_add_f64 v[104:105], v[188:189], v[192:193]
	;; [unrolled: 1-line block ×3, first 2 shown]
	v_add_f64 v[66:67], v[182:183], -v[218:219]
	v_add_f64 v[72:73], v[184:185], -v[212:213]
	v_add_f64 v[182:183], v[70:71], v[62:63]
	v_add_f64 v[184:185], v[68:69], -v[60:61]
	v_add_f64 v[60:61], v[60:61], -v[104:105]
	;; [unrolled: 1-line block ×3, first 2 shown]
	v_add_f64 v[104:105], v[104:105], v[180:181]
	v_add_f64 v[74:75], v[186:187], -v[214:215]
	v_add_f64 v[186:187], v[70:71], -v[62:63]
	;; [unrolled: 1-line block ×4, first 2 shown]
	v_add_f64 v[106:107], v[106:107], v[182:183]
	v_add_f64 v[44:45], v[44:45], v[104:105]
	;; [unrolled: 1-line block ×4, first 2 shown]
	v_add_f64 v[192:193], v[108:109], -v[72:73]
	v_add_f64 v[194:195], v[110:111], -v[74:75]
	v_add_f64 v[72:73], v[72:73], -v[64:65]
	v_add_f64 v[74:75], v[74:75], -v[66:67]
	v_add_f64 v[46:47], v[46:47], v[106:107]
	v_pk_mov_b32 v[212:213], v[44:45], v[44:45] op_sel:[0,1]
	v_add_f64 v[108:109], v[64:65], -v[108:109]
	v_add_f64 v[110:111], v[66:67], -v[110:111]
	v_add_f64 v[64:65], v[188:189], v[64:65]
	v_add_f64 v[66:67], v[190:191], v[66:67]
	v_mul_f64 v[60:61], v[60:61], s[22:23]
	v_mul_f64 v[62:63], v[62:63], s[22:23]
	;; [unrolled: 1-line block ×8, first 2 shown]
	v_fmac_f64_e32 v[212:213], s[20:21], v[104:105]
	v_pk_mov_b32 v[104:105], v[46:47], v[46:47] op_sel:[0,1]
	v_fmac_f64_e32 v[104:105], s[20:21], v[106:107]
	v_fma_f64 v[106:107], v[184:185], s[8:9], -v[180:181]
	v_fma_f64 v[180:181], v[186:187], s[8:9], -v[182:183]
	;; [unrolled: 1-line block ×3, first 2 shown]
	v_fmac_f64_e32 v[60:61], s[4:5], v[68:69]
	v_fma_f64 v[68:69], v[186:187], s[16:17], -v[62:63]
	v_fmac_f64_e32 v[62:63], s[4:5], v[70:71]
	v_fma_f64 v[184:185], v[72:73], s[6:7], -v[188:189]
	;; [unrolled: 2-line block ×3, first 2 shown]
	v_fmac_f64_e32 v[190:191], s[18:19], v[110:111]
	v_fmac_f64_e32 v[192:193], s[14:15], v[108:109]
	;; [unrolled: 1-line block ×3, first 2 shown]
	v_add_f64 v[108:109], v[60:61], v[212:213]
	v_add_f64 v[110:111], v[62:63], v[104:105]
	;; [unrolled: 1-line block ×6, first 2 shown]
	v_fmac_f64_e32 v[188:189], s[2:3], v[64:65]
	v_fmac_f64_e32 v[190:191], s[2:3], v[66:67]
	;; [unrolled: 1-line block ×6, first 2 shown]
	v_add_f64 v[64:65], v[190:191], v[108:109]
	v_add_f64 v[66:67], v[110:111], -v[188:189]
	v_add_f64 v[60:61], v[194:195], v[180:181]
	v_add_f64 v[62:63], v[182:183], -v[192:193]
	v_add_f64 v[68:69], v[74:75], -v[72:73]
	v_add_f64 v[70:71], v[184:185], v[106:107]
	v_add_f64 v[72:73], v[72:73], v[74:75]
	v_add_f64 v[74:75], v[106:107], -v[184:185]
	v_add_f64 v[104:105], v[180:181], -v[194:195]
	v_add_f64 v[106:107], v[192:193], v[182:183]
	v_add_f64 v[108:109], v[108:109], -v[190:191]
	v_add_f64 v[110:111], v[188:189], v[110:111]
	ds_write_b128 v196, v[4:7]
	ds_write_b128 v196, v[20:23] offset:784
	ds_write_b128 v196, v[16:19] offset:1568
	;; [unrolled: 1-line block ×13, first 2 shown]
	buffer_load_dword v4, off, s[40:43], 0 offset:1820 ; 4-byte Folded Reload
	v_add_f64 v[180:181], v[166:167], v[176:177]
	v_add_f64 v[166:167], v[166:167], -v[176:177]
	v_add_f64 v[176:177], v[162:163], v[172:173]
	v_add_f64 v[182:183], v[168:169], v[178:179]
	v_add_f64 v[168:169], v[168:169], -v[178:179]
	v_add_f64 v[178:179], v[164:165], v[174:175]
	v_add_f64 v[162:163], v[162:163], -v[172:173]
	;; [unrolled: 2-line block ×5, first 2 shown]
	v_add_f64 v[170:171], v[178:179], v[182:183]
	v_add_f64 v[160:161], v[172:173], v[160:161]
	v_add_f64 v[184:185], v[176:177], -v[180:181]
	v_add_f64 v[180:181], v[180:181], -v[172:173]
	v_add_f64 v[190:191], v[136:137], v[164:165]
	v_add_f64 v[194:195], v[136:137], -v[164:165]
	v_add_f64 v[214:215], v[168:169], -v[136:137]
	v_add_f64 v[170:171], v[174:175], v[170:171]
	v_add_f64 v[136:137], v[48:49], v[160:161]
	v_add_f64 v[186:187], v[178:179], -v[182:183]
	v_add_f64 v[182:183], v[182:183], -v[174:175]
	;; [unrolled: 1-line block ×4, first 2 shown]
	v_add_f64 v[188:189], v[138:139], v[162:163]
	v_add_f64 v[192:193], v[138:139], -v[162:163]
	v_add_f64 v[212:213], v[166:167], -v[138:139]
	;; [unrolled: 1-line block ×4, first 2 shown]
	v_add_f64 v[138:139], v[50:51], v[170:171]
	v_mul_f64 v[48:49], v[180:181], s[22:23]
	v_pk_mov_b32 v[180:181], v[136:137], v[136:137] op_sel:[0,1]
	v_add_f64 v[166:167], v[188:189], v[166:167]
	v_add_f64 v[168:169], v[190:191], v[168:169]
	v_mul_f64 v[50:51], v[182:183], s[22:23]
	v_mul_f64 v[172:173], v[176:177], s[4:5]
	;; [unrolled: 1-line block ×7, first 2 shown]
	v_fmac_f64_e32 v[180:181], s[20:21], v[160:161]
	v_pk_mov_b32 v[160:161], v[138:139], v[138:139] op_sel:[0,1]
	v_fmac_f64_e32 v[160:161], s[20:21], v[170:171]
	v_fma_f64 v[170:171], v[184:185], s[8:9], -v[172:173]
	v_fma_f64 v[172:173], v[186:187], s[8:9], -v[174:175]
	;; [unrolled: 1-line block ×3, first 2 shown]
	v_fmac_f64_e32 v[48:49], s[4:5], v[176:177]
	v_fma_f64 v[176:177], v[186:187], s[16:17], -v[50:51]
	v_fmac_f64_e32 v[50:51], s[4:5], v[178:179]
	v_fma_f64 v[162:163], v[162:163], s[6:7], -v[216:217]
	v_fmac_f64_e32 v[216:217], s[18:19], v[212:213]
	v_fma_f64 v[164:165], v[164:165], s[6:7], -v[192:193]
	v_fmac_f64_e32 v[192:193], s[18:19], v[214:215]
	v_fmac_f64_e32 v[190:191], s[14:15], v[212:213]
	;; [unrolled: 1-line block ×3, first 2 shown]
	v_add_f64 v[48:49], v[48:49], v[180:181]
	v_add_f64 v[50:51], v[50:51], v[160:161]
	;; [unrolled: 1-line block ×6, first 2 shown]
	v_fmac_f64_e32 v[216:217], s[2:3], v[166:167]
	v_fmac_f64_e32 v[192:193], s[2:3], v[168:169]
	;; [unrolled: 1-line block ×6, first 2 shown]
	v_add_f64 v[176:177], v[192:193], v[48:49]
	v_add_f64 v[178:179], v[50:51], -v[216:217]
	v_add_f64 v[172:173], v[188:189], v[194:195]
	v_add_f64 v[174:175], v[160:161], -v[190:191]
	v_add_f64 v[180:181], v[170:171], -v[164:165]
	v_add_f64 v[182:183], v[162:163], v[186:187]
	v_add_f64 v[184:185], v[164:165], v[170:171]
	v_add_f64 v[186:187], v[186:187], -v[162:163]
	v_add_f64 v[188:189], v[194:195], -v[188:189]
	v_add_f64 v[190:191], v[190:191], v[160:161]
	v_add_f64 v[192:193], v[48:49], -v[192:193]
	v_add_f64 v[194:195], v[216:217], v[50:51]
	s_waitcnt vmcnt(0)
	ds_write_b128 v4, v[136:139] offset:10976
	ds_write_b128 v4, v[176:179] offset:11760
	;; [unrolled: 1-line block ×7, first 2 shown]
	buffer_load_dword v4, off, s[40:43], 0 offset:1816 ; 4-byte Folded Reload
	v_add_f64 v[48:49], v[132:133], v[156:157]
	v_add_f64 v[132:133], v[132:133], -v[156:157]
	v_add_f64 v[156:157], v[140:141], v[152:153]
	v_add_f64 v[50:51], v[134:135], v[158:159]
	v_add_f64 v[134:135], v[134:135], -v[158:159]
	v_add_f64 v[158:159], v[144:145], v[154:155]
	v_add_f64 v[140:141], v[140:141], -v[152:153]
	;; [unrolled: 2-line block ×5, first 2 shown]
	v_add_f64 v[150:151], v[158:159], v[50:51]
	v_add_f64 v[148:149], v[152:153], v[148:149]
	;; [unrolled: 1-line block ×4, first 2 shown]
	v_add_f64 v[170:171], v[146:147], -v[144:145]
	v_add_f64 v[214:215], v[144:145], -v[134:135]
	v_add_f64 v[150:151], v[154:155], v[150:151]
	v_add_f64 v[144:145], v[24:25], v[148:149]
	v_add_f64 v[160:161], v[156:157], -v[48:49]
	v_add_f64 v[162:163], v[158:159], -v[50:51]
	;; [unrolled: 1-line block ×10, first 2 shown]
	v_add_f64 v[132:133], v[164:165], v[132:133]
	v_add_f64 v[146:147], v[26:27], v[150:151]
	v_pk_mov_b32 v[164:165], v[144:145], v[144:145] op_sel:[0,1]
	v_mul_f64 v[24:25], v[48:49], s[22:23]
	v_mul_f64 v[26:27], v[50:51], s[22:23]
	;; [unrolled: 1-line block ×8, first 2 shown]
	v_fmac_f64_e32 v[164:165], s[20:21], v[148:149]
	v_pk_mov_b32 v[148:149], v[146:147], v[146:147] op_sel:[0,1]
	v_add_f64 v[134:135], v[166:167], v[134:135]
	v_fmac_f64_e32 v[148:149], s[20:21], v[150:151]
	v_fma_f64 v[48:49], v[160:161], s[8:9], -v[48:49]
	v_fma_f64 v[50:51], v[162:163], s[8:9], -v[50:51]
	v_fma_f64 v[150:151], v[160:161], s[16:17], -v[24:25]
	v_fmac_f64_e32 v[24:25], s[4:5], v[156:157]
	v_fma_f64 v[156:157], v[162:163], s[16:17], -v[26:27]
	v_fmac_f64_e32 v[26:27], s[4:5], v[158:159]
	v_fma_f64 v[140:141], v[140:141], s[6:7], -v[216:217]
	;; [unrolled: 2-line block ×3, first 2 shown]
	v_fmac_f64_e32 v[218:219], s[18:19], v[212:213]
	v_fmac_f64_e32 v[154:155], s[14:15], v[142:143]
	;; [unrolled: 1-line block ×3, first 2 shown]
	v_add_f64 v[24:25], v[24:25], v[164:165]
	v_add_f64 v[26:27], v[26:27], v[148:149]
	;; [unrolled: 1-line block ×6, first 2 shown]
	v_fmac_f64_e32 v[216:217], s[2:3], v[132:133]
	v_fmac_f64_e32 v[218:219], s[2:3], v[134:135]
	;; [unrolled: 1-line block ×6, first 2 shown]
	v_add_f64 v[168:169], v[218:219], v[24:25]
	v_add_f64 v[170:171], v[26:27], -v[216:217]
	v_add_f64 v[164:165], v[152:153], v[142:143]
	v_add_f64 v[166:167], v[148:149], -v[154:155]
	v_add_f64 v[160:161], v[48:49], -v[158:159]
	v_add_f64 v[162:163], v[140:141], v[50:51]
	v_add_f64 v[156:157], v[158:159], v[48:49]
	v_add_f64 v[158:159], v[50:51], -v[140:141]
	v_add_f64 v[152:153], v[142:143], -v[152:153]
	v_add_f64 v[154:155], v[154:155], v[148:149]
	v_add_f64 v[148:149], v[24:25], -v[218:219]
	v_add_f64 v[150:151], v[216:217], v[26:27]
	s_waitcnt vmcnt(0)
	ds_write_b128 v4, v[144:147] offset:16464
	ds_write_b128 v4, v[168:171] offset:17248
	;; [unrolled: 1-line block ×7, first 2 shown]
	buffer_load_dword v4, off, s[40:43], 0 offset:1048 ; 4-byte Folded Reload
	v_add_f64 v[24:25], v[100:101], v[128:129]
	v_add_f64 v[48:49], v[100:101], -v[128:129]
	v_add_f64 v[100:101], v[102:103], v[124:125]
	v_add_f64 v[26:27], v[112:113], v[130:131]
	v_add_f64 v[50:51], v[112:113], -v[130:131]
	v_add_f64 v[112:113], v[114:115], v[126:127]
	v_add_f64 v[102:103], v[102:103], -v[124:125]
	v_add_f64 v[114:115], v[114:115], -v[126:127]
	v_add_f64 v[124:125], v[116:117], v[120:121]
	v_add_f64 v[126:127], v[118:119], v[122:123]
	v_add_f64 v[116:117], v[120:121], -v[116:117]
	v_add_f64 v[120:121], v[100:101], v[24:25]
	v_add_f64 v[118:119], v[122:123], -v[118:119]
	;; [unrolled: 2-line block ×3, first 2 shown]
	v_add_f64 v[132:133], v[126:127], -v[112:113]
	v_add_f64 v[112:113], v[116:117], v[102:103]
	v_add_f64 v[120:121], v[124:125], v[120:121]
	v_add_f64 v[140:141], v[116:117], -v[102:103]
	v_add_f64 v[116:117], v[48:49], -v[116:117]
	v_add_f64 v[102:103], v[102:103], -v[48:49]
	v_add_f64 v[122:123], v[126:127], v[122:123]
	v_add_f64 v[48:49], v[112:113], v[48:49]
	;; [unrolled: 1-line block ×3, first 2 shown]
	v_add_f64 v[128:129], v[100:101], -v[24:25]
	v_add_f64 v[24:25], v[24:25], -v[124:125]
	;; [unrolled: 1-line block ×4, first 2 shown]
	v_add_f64 v[134:135], v[118:119], v[114:115]
	v_add_f64 v[142:143], v[118:119], -v[114:115]
	v_add_f64 v[212:213], v[114:115], -v[50:51]
	v_add_f64 v[114:115], v[14:15], v[122:123]
	v_pk_mov_b32 v[124:125], v[112:113], v[112:113] op_sel:[0,1]
	v_add_f64 v[118:119], v[50:51], -v[118:119]
	v_mul_f64 v[12:13], v[24:25], s[22:23]
	v_mul_f64 v[14:15], v[26:27], s[22:23]
	;; [unrolled: 1-line block ×8, first 2 shown]
	v_fmac_f64_e32 v[124:125], s[20:21], v[120:121]
	v_pk_mov_b32 v[120:121], v[114:115], v[114:115] op_sel:[0,1]
	v_add_f64 v[50:51], v[134:135], v[50:51]
	v_fmac_f64_e32 v[120:121], s[20:21], v[122:123]
	v_fma_f64 v[24:25], v[128:129], s[8:9], -v[24:25]
	v_fma_f64 v[26:27], v[130:131], s[8:9], -v[26:27]
	v_fma_f64 v[122:123], v[128:129], s[16:17], -v[12:13]
	v_fmac_f64_e32 v[12:13], s[4:5], v[100:101]
	v_fma_f64 v[100:101], v[130:131], s[16:17], -v[14:15]
	v_fmac_f64_e32 v[14:15], s[4:5], v[132:133]
	v_fma_f64 v[102:103], v[102:103], s[6:7], -v[214:215]
	;; [unrolled: 2-line block ×3, first 2 shown]
	v_fmac_f64_e32 v[216:217], s[18:19], v[118:119]
	v_fmac_f64_e32 v[218:219], s[14:15], v[116:117]
	;; [unrolled: 1-line block ×3, first 2 shown]
	v_add_f64 v[12:13], v[12:13], v[124:125]
	v_add_f64 v[14:15], v[14:15], v[120:121]
	v_add_f64 v[24:25], v[24:25], v[124:125]
	v_add_f64 v[26:27], v[26:27], v[120:121]
	v_add_f64 v[116:117], v[122:123], v[124:125]
	v_add_f64 v[100:101], v[100:101], v[120:121]
	v_fmac_f64_e32 v[214:215], s[2:3], v[48:49]
	v_fmac_f64_e32 v[216:217], s[2:3], v[50:51]
	;; [unrolled: 1-line block ×6, first 2 shown]
	v_add_f64 v[140:141], v[216:217], v[12:13]
	v_add_f64 v[142:143], v[14:15], -v[214:215]
	v_add_f64 v[132:133], v[220:221], v[116:117]
	v_add_f64 v[134:135], v[100:101], -v[218:219]
	v_add_f64 v[128:129], v[24:25], -v[126:127]
	v_add_f64 v[130:131], v[102:103], v[26:27]
	v_add_f64 v[124:125], v[126:127], v[24:25]
	v_add_f64 v[126:127], v[26:27], -v[102:103]
	v_add_f64 v[120:121], v[116:117], -v[220:221]
	v_add_f64 v[122:123], v[218:219], v[100:101]
	v_add_f64 v[116:117], v[12:13], -v[216:217]
	v_add_f64 v[118:119], v[214:215], v[14:15]
	s_waitcnt vmcnt(0)
	ds_write_b128 v4, v[112:115] offset:21952
	ds_write_b128 v4, v[140:143] offset:22736
	;; [unrolled: 1-line block ×7, first 2 shown]
	buffer_load_dword v4, off, s[40:43], 0 offset:784 ; 4-byte Folded Reload
	v_add_f64 v[12:13], v[76:77], v[96:97]
	v_add_f64 v[48:49], v[80:81], v[92:93]
	;; [unrolled: 1-line block ×3, first 2 shown]
	v_add_f64 v[24:25], v[76:77], -v[96:97]
	v_add_f64 v[50:51], v[84:85], v[94:95]
	v_add_f64 v[76:77], v[80:81], -v[92:93]
	v_add_f64 v[80:81], v[82:83], v[88:89]
	;; [unrolled: 2-line block ×3, first 2 shown]
	v_add_f64 v[26:27], v[78:79], -v[98:99]
	v_add_f64 v[78:79], v[84:85], -v[94:95]
	v_add_f64 v[84:85], v[86:87], v[90:91]
	v_add_f64 v[86:87], v[90:91], -v[86:87]
	v_add_f64 v[90:91], v[50:51], v[14:15]
	v_add_f64 v[92:93], v[48:49], -v[12:13]
	v_add_f64 v[12:13], v[12:13], -v[80:81]
	v_add_f64 v[48:49], v[80:81], -v[48:49]
	v_add_f64 v[80:81], v[80:81], v[88:89]
	v_add_f64 v[94:95], v[50:51], -v[14:15]
	v_add_f64 v[14:15], v[14:15], -v[84:85]
	;; [unrolled: 4-line block ×3, first 2 shown]
	v_add_f64 v[84:85], v[84:85], v[90:91]
	v_add_f64 v[76:77], v[8:9], v[80:81]
	;; [unrolled: 1-line block ×3, first 2 shown]
	v_add_f64 v[102:103], v[86:87], -v[78:79]
	v_add_f64 v[214:215], v[78:79], -v[26:27]
	v_add_f64 v[78:79], v[10:11], v[84:85]
	v_pk_mov_b32 v[88:89], v[76:77], v[76:77] op_sel:[0,1]
	v_add_f64 v[82:83], v[24:25], -v[82:83]
	v_add_f64 v[86:87], v[26:27], -v[86:87]
	v_mul_f64 v[8:9], v[12:13], s[22:23]
	v_mul_f64 v[10:11], v[14:15], s[22:23]
	;; [unrolled: 1-line block ×8, first 2 shown]
	v_fmac_f64_e32 v[88:89], s[20:21], v[80:81]
	v_pk_mov_b32 v[80:81], v[78:79], v[78:79] op_sel:[0,1]
	v_add_f64 v[24:25], v[96:97], v[24:25]
	v_add_f64 v[26:27], v[98:99], v[26:27]
	v_fmac_f64_e32 v[80:81], s[20:21], v[84:85]
	v_fma_f64 v[12:13], v[92:93], s[8:9], -v[12:13]
	v_fma_f64 v[14:15], v[94:95], s[8:9], -v[14:15]
	v_fma_f64 v[84:85], v[92:93], s[16:17], -v[8:9]
	v_fmac_f64_e32 v[8:9], s[4:5], v[48:49]
	v_fma_f64 v[48:49], v[94:95], s[16:17], -v[10:11]
	v_fmac_f64_e32 v[10:11], s[4:5], v[50:51]
	v_fma_f64 v[50:51], v[212:213], s[6:7], -v[216:217]
	;; [unrolled: 2-line block ×3, first 2 shown]
	v_fmac_f64_e32 v[218:219], s[18:19], v[86:87]
	v_fmac_f64_e32 v[220:221], s[14:15], v[82:83]
	;; [unrolled: 1-line block ×3, first 2 shown]
	v_add_f64 v[8:9], v[8:9], v[88:89]
	v_add_f64 v[10:11], v[10:11], v[80:81]
	;; [unrolled: 1-line block ×6, first 2 shown]
	v_fmac_f64_e32 v[216:217], s[2:3], v[24:25]
	v_fmac_f64_e32 v[218:219], s[2:3], v[26:27]
	;; [unrolled: 1-line block ×6, first 2 shown]
	v_add_f64 v[100:101], v[218:219], v[8:9]
	v_add_f64 v[102:103], v[10:11], -v[216:217]
	v_add_f64 v[96:97], v[222:223], v[82:83]
	v_add_f64 v[98:99], v[48:49], -v[220:221]
	v_add_f64 v[92:93], v[12:13], -v[90:91]
	v_add_f64 v[94:95], v[50:51], v[14:15]
	v_add_f64 v[88:89], v[90:91], v[12:13]
	v_add_f64 v[90:91], v[14:15], -v[50:51]
	v_add_f64 v[84:85], v[82:83], -v[222:223]
	v_add_f64 v[86:87], v[220:221], v[48:49]
	v_add_f64 v[80:81], v[8:9], -v[218:219]
	v_add_f64 v[82:83], v[216:217], v[10:11]
	s_waitcnt vmcnt(0)
	ds_write_b128 v4, v[76:79] offset:27440
	ds_write_b128 v4, v[100:103] offset:28224
	;; [unrolled: 1-line block ×7, first 2 shown]
	buffer_load_dword v4, off, s[40:43], 0 offset:772 ; 4-byte Folded Reload
	v_add_f64 v[8:9], v[52:53], v[208:209]
	v_add_f64 v[24:25], v[54:55], v[204:205]
	;; [unrolled: 1-line block ×3, first 2 shown]
	v_add_f64 v[12:13], v[52:53], -v[208:209]
	v_add_f64 v[14:15], v[56:57], -v[210:211]
	v_add_f64 v[26:27], v[244:245], v[206:207]
	v_add_f64 v[48:49], v[54:55], -v[204:205]
	v_add_f64 v[52:53], v[58:59], v[200:201]
	v_add_f64 v[54:55], v[198:199], v[202:203]
	v_add_f64 v[56:57], v[200:201], -v[58:59]
	v_add_f64 v[58:59], v[202:203], -v[198:199]
	v_add_f64 v[198:199], v[24:25], v[8:9]
	v_add_f64 v[200:201], v[26:27], v[10:11]
	v_add_f64 v[202:203], v[24:25], -v[8:9]
	v_add_f64 v[8:9], v[8:9], -v[52:53]
	;; [unrolled: 1-line block ×3, first 2 shown]
	v_add_f64 v[52:53], v[52:53], v[198:199]
	v_add_f64 v[50:51], v[244:245], -v[206:207]
	v_add_f64 v[204:205], v[26:27], -v[10:11]
	;; [unrolled: 1-line block ×4, first 2 shown]
	v_add_f64 v[54:55], v[54:55], v[200:201]
	v_add_f64 v[0:1], v[0:1], v[52:53]
	;; [unrolled: 1-line block ×4, first 2 shown]
	v_add_f64 v[210:211], v[56:57], -v[48:49]
	v_add_f64 v[212:213], v[58:59], -v[50:51]
	;; [unrolled: 1-line block ×4, first 2 shown]
	v_add_f64 v[2:3], v[2:3], v[54:55]
	v_pk_mov_b32 v[214:215], v[0:1], v[0:1] op_sel:[0,1]
	v_add_f64 v[56:57], v[12:13], -v[56:57]
	v_add_f64 v[58:59], v[14:15], -v[58:59]
	v_add_f64 v[12:13], v[206:207], v[12:13]
	v_add_f64 v[14:15], v[208:209], v[14:15]
	v_mul_f64 v[8:9], v[8:9], s[22:23]
	v_mul_f64 v[10:11], v[10:11], s[22:23]
	;; [unrolled: 1-line block ×8, first 2 shown]
	v_fmac_f64_e32 v[214:215], s[20:21], v[52:53]
	v_pk_mov_b32 v[52:53], v[2:3], v[2:3] op_sel:[0,1]
	v_fmac_f64_e32 v[52:53], s[20:21], v[54:55]
	v_fma_f64 v[54:55], v[202:203], s[8:9], -v[198:199]
	v_fma_f64 v[198:199], v[204:205], s[8:9], -v[200:201]
	;; [unrolled: 1-line block ×3, first 2 shown]
	v_fmac_f64_e32 v[8:9], s[4:5], v[24:25]
	v_fma_f64 v[24:25], v[204:205], s[16:17], -v[10:11]
	v_fmac_f64_e32 v[10:11], s[4:5], v[26:27]
	v_fma_f64 v[26:27], v[48:49], s[6:7], -v[206:207]
	;; [unrolled: 2-line block ×3, first 2 shown]
	v_fmac_f64_e32 v[208:209], s[18:19], v[58:59]
	v_fmac_f64_e32 v[210:211], s[14:15], v[56:57]
	;; [unrolled: 1-line block ×3, first 2 shown]
	v_add_f64 v[8:9], v[8:9], v[214:215]
	v_add_f64 v[10:11], v[10:11], v[52:53]
	;; [unrolled: 1-line block ×6, first 2 shown]
	v_fmac_f64_e32 v[206:207], s[2:3], v[12:13]
	v_fmac_f64_e32 v[208:209], s[2:3], v[14:15]
	;; [unrolled: 1-line block ×6, first 2 shown]
	v_add_f64 v[56:57], v[208:209], v[8:9]
	v_add_f64 v[58:59], v[10:11], -v[206:207]
	v_add_f64 v[52:53], v[212:213], v[200:201]
	v_add_f64 v[54:55], v[214:215], -v[210:211]
	v_add_f64 v[48:49], v[204:205], -v[202:203]
	v_add_f64 v[50:51], v[26:27], v[198:199]
	v_add_f64 v[24:25], v[202:203], v[204:205]
	v_add_f64 v[26:27], v[198:199], -v[26:27]
	v_add_f64 v[12:13], v[200:201], -v[212:213]
	v_add_f64 v[14:15], v[210:211], v[214:215]
	v_add_f64 v[8:9], v[8:9], -v[208:209]
	v_add_f64 v[10:11], v[206:207], v[10:11]
	s_waitcnt vmcnt(0)
	ds_write_b128 v4, v[0:3] offset:32928
	ds_write_b128 v4, v[56:59] offset:33712
	;; [unrolled: 1-line block ×7, first 2 shown]
	s_waitcnt lgkmcnt(0)
	; wave barrier
	s_waitcnt lgkmcnt(0)
	ds_read_b128 v[202:205], v196
	ds_read_b128 v[192:195], v196 offset:5488
	ds_read_b128 v[188:191], v196 offset:10976
	;; [unrolled: 1-line block ×48, first 2 shown]
	buffer_load_dword v2, off, s[40:43], 0 offset:860 ; 4-byte Folded Reload
	buffer_load_dword v3, off, s[40:43], 0 offset:864 ; 4-byte Folded Reload
	;; [unrolled: 1-line block ×4, first 2 shown]
	s_waitcnt vmcnt(0) lgkmcnt(14)
	v_mul_f64 v[252:253], v[4:5], v[194:195]
	v_mul_f64 v[0:1], v[4:5], v[192:193]
	v_fmac_f64_e32 v[252:253], v[2:3], v[192:193]
	v_fma_f64 v[10:11], v[2:3], v[194:195], -v[0:1]
	buffer_load_dword v2, off, s[40:43], 0 offset:896 ; 4-byte Folded Reload
	buffer_load_dword v3, off, s[40:43], 0 offset:900 ; 4-byte Folded Reload
	;; [unrolled: 1-line block ×4, first 2 shown]
	s_waitcnt vmcnt(0)
	v_mul_f64 v[248:249], v[4:5], v[190:191]
	v_mul_f64 v[0:1], v[4:5], v[188:189]
	v_fmac_f64_e32 v[248:249], v[2:3], v[188:189]
	v_fma_f64 v[254:255], v[2:3], v[190:191], -v[0:1]
	buffer_load_dword v2, off, s[40:43], 0 offset:912 ; 4-byte Folded Reload
	buffer_load_dword v3, off, s[40:43], 0 offset:916 ; 4-byte Folded Reload
	;; [unrolled: 1-line block ×4, first 2 shown]
	s_waitcnt vmcnt(0)
	v_mul_f64 v[246:247], v[4:5], v[186:187]
	v_mul_f64 v[0:1], v[4:5], v[184:185]
	buffer_load_dword v4, off, s[40:43], 0 offset:928 ; 4-byte Folded Reload
	buffer_load_dword v5, off, s[40:43], 0 offset:932 ; 4-byte Folded Reload
	;; [unrolled: 1-line block ×12, first 2 shown]
	v_fma_f64 v[250:251], v[2:3], v[186:187], -v[0:1]
	v_fmac_f64_e32 v[246:247], v[2:3], v[184:185]
	s_waitcnt vmcnt(8)
	v_mul_f64 v[0:1], v[6:7], v[180:181]
	v_mul_f64 v[2:3], v[6:7], v[182:183]
	v_fma_f64 v[8:9], v[4:5], v[182:183], -v[0:1]
	s_waitcnt vmcnt(4)
	v_mul_f64 v[6:7], v[14:15], v[178:179]
	v_mul_f64 v[0:1], v[14:15], v[176:177]
	v_fmac_f64_e32 v[2:3], v[4:5], v[180:181]
	v_fmac_f64_e32 v[6:7], v[12:13], v[176:177]
	v_fma_f64 v[4:5], v[12:13], v[178:179], -v[0:1]
	s_waitcnt vmcnt(0)
	v_mul_f64 v[0:1], v[46:47], v[174:175]
	v_mul_f64 v[12:13], v[46:47], v[172:173]
	v_fmac_f64_e32 v[0:1], v[44:45], v[172:173]
	v_fma_f64 v[46:47], v[44:45], v[174:175], -v[12:13]
	buffer_load_dword v172, off, s[40:43], 0 offset:1280 ; 4-byte Folded Reload
	buffer_load_dword v173, off, s[40:43], 0 offset:1284 ; 4-byte Folded Reload
	buffer_load_dword v174, off, s[40:43], 0 offset:1288 ; 4-byte Folded Reload
	buffer_load_dword v175, off, s[40:43], 0 offset:1292 ; 4-byte Folded Reload
	s_waitcnt vmcnt(0)
	v_mul_f64 v[228:229], v[174:175], v[170:171]
	v_mul_f64 v[12:13], v[174:175], v[168:169]
	v_fmac_f64_e32 v[228:229], v[172:173], v[168:169]
	v_fma_f64 v[234:235], v[172:173], v[170:171], -v[12:13]
	buffer_load_dword v168, off, s[40:43], 0 offset:1296 ; 4-byte Folded Reload
	buffer_load_dword v169, off, s[40:43], 0 offset:1300 ; 4-byte Folded Reload
	buffer_load_dword v170, off, s[40:43], 0 offset:1304 ; 4-byte Folded Reload
	buffer_load_dword v171, off, s[40:43], 0 offset:1308 ; 4-byte Folded Reload
	;; [unrolled: 9-line block ×12, first 2 shown]
	s_waitcnt vmcnt(0)
	v_mul_f64 v[218:219], v[130:131], v[126:127]
	v_mul_f64 v[14:15], v[130:131], v[124:125]
	v_fmac_f64_e32 v[218:219], v[128:129], v[124:125]
	v_fma_f64 v[220:221], v[128:129], v[126:127], -v[14:15]
	v_accvgpr_read_b32 v124, a236
	v_accvgpr_read_b32 v126, a238
	v_accvgpr_read_b32 v127, a239
	v_accvgpr_read_b32 v125, a237
	v_mul_f64 v[14:15], v[126:127], v[122:123]
	v_fmac_f64_e32 v[14:15], v[124:125], v[120:121]
	v_mul_f64 v[120:121], v[126:127], v[120:121]
	v_fma_f64 v[122:123], v[124:125], v[122:123], -v[120:121]
	v_accvgpr_read_b32 v124, a224
	v_accvgpr_read_b32 v126, a226
	v_accvgpr_read_b32 v127, a227
	v_accvgpr_read_b32 v125, a225
	v_mul_f64 v[120:121], v[126:127], v[118:119]
	v_fmac_f64_e32 v[120:121], v[124:125], v[116:117]
	v_mul_f64 v[116:117], v[126:127], v[116:117]
	;; [unrolled: 8-line block ×12, first 2 shown]
	v_fma_f64 v[146:147], v[80:81], v[78:79], -v[76:77]
	v_accvgpr_read_b32 v76, a98
	v_accvgpr_read_b32 v78, a100
	v_accvgpr_read_b32 v79, a101
	v_accvgpr_read_b32 v77, a99
	s_waitcnt lgkmcnt(12)
	v_mul_f64 v[154:155], v[78:79], v[70:71]
	v_fmac_f64_e32 v[154:155], v[76:77], v[68:69]
	v_mul_f64 v[68:69], v[78:79], v[68:69]
	v_fma_f64 v[160:161], v[76:77], v[70:71], -v[68:69]
	v_accvgpr_read_b32 v68, a94
	v_accvgpr_read_b32 v70, a96
	v_accvgpr_read_b32 v71, a97
	v_accvgpr_read_b32 v69, a95
	s_waitcnt lgkmcnt(11)
	v_mul_f64 v[152:153], v[70:71], v[66:67]
	v_fmac_f64_e32 v[152:153], v[68:69], v[64:65]
	v_mul_f64 v[64:65], v[70:71], v[64:65]
	;; [unrolled: 9-line block ×12, first 2 shown]
	v_fma_f64 v[194:195], v[20:21], v[18:19], -v[16:17]
	v_add_f64 v[16:17], v[252:253], v[0:1]
	v_add_f64 v[20:21], v[248:249], v[6:7]
	;; [unrolled: 1-line block ×6, first 2 shown]
	v_add_f64 v[10:11], v[10:11], -v[46:47]
	v_add_f64 v[4:5], v[254:255], -v[4:5]
	v_add_f64 v[26:27], v[250:251], v[8:9]
	v_add_f64 v[8:9], v[8:9], -v[250:251]
	v_add_f64 v[30:31], v[22:23], v[18:19]
	v_add_f64 v[32:33], v[20:21], -v[16:17]
	v_add_f64 v[16:17], v[16:17], -v[24:25]
	v_add_f64 v[20:21], v[24:25], -v[20:21]
	v_add_f64 v[24:25], v[24:25], v[28:29]
	v_add_f64 v[0:1], v[252:253], -v[0:1]
	v_add_f64 v[6:7], v[248:249], -v[6:7]
	;; [unrolled: 1-line block ×6, first 2 shown]
	v_add_f64 v[38:39], v[8:9], v[4:5]
	v_add_f64 v[48:49], v[8:9], -v[4:5]
	v_add_f64 v[50:51], v[10:11], -v[8:9]
	v_add_f64 v[26:27], v[26:27], v[30:31]
	v_add_f64 v[8:9], v[202:203], v[24:25]
	;; [unrolled: 1-line block ×3, first 2 shown]
	v_add_f64 v[46:47], v[2:3], -v[6:7]
	v_add_f64 v[6:7], v[6:7], -v[0:1]
	v_add_f64 v[4:5], v[4:5], -v[10:11]
	v_add_f64 v[28:29], v[38:39], v[10:11]
	v_add_f64 v[10:11], v[204:205], v[26:27]
	v_pk_mov_b32 v[54:55], v[8:9], v[8:9] op_sel:[0,1]
	v_add_f64 v[2:3], v[0:1], -v[2:3]
	v_mul_f64 v[16:17], v[16:17], s[22:23]
	v_mul_f64 v[18:19], v[18:19], s[22:23]
	;; [unrolled: 1-line block ×6, first 2 shown]
	v_fmac_f64_e32 v[54:55], s[20:21], v[24:25]
	v_pk_mov_b32 v[24:25], v[10:11], v[10:11] op_sel:[0,1]
	v_add_f64 v[0:1], v[36:37], v[0:1]
	v_mul_f64 v[36:37], v[22:23], s[4:5]
	v_mul_f64 v[52:53], v[4:5], s[26:27]
	v_fmac_f64_e32 v[24:25], s[20:21], v[26:27]
	v_fma_f64 v[26:27], v[32:33], s[8:9], -v[30:31]
	v_fma_f64 v[32:33], v[32:33], s[16:17], -v[16:17]
	v_fmac_f64_e32 v[16:17], s[4:5], v[20:21]
	v_fma_f64 v[20:21], v[34:35], s[16:17], -v[18:19]
	v_fma_f64 v[4:5], v[4:5], s[6:7], -v[46:47]
	v_fmac_f64_e32 v[46:47], s[18:19], v[50:51]
	v_fmac_f64_e32 v[48:49], s[14:15], v[2:3]
	v_fma_f64 v[30:31], v[34:35], s[8:9], -v[36:37]
	v_fmac_f64_e32 v[18:19], s[4:5], v[22:23]
	v_fma_f64 v[6:7], v[6:7], s[6:7], -v[38:39]
	v_fmac_f64_e32 v[38:39], s[18:19], v[2:3]
	v_fmac_f64_e32 v[52:53], s[14:15], v[50:51]
	v_add_f64 v[2:3], v[16:17], v[54:55]
	v_add_f64 v[34:35], v[26:27], v[54:55]
	;; [unrolled: 1-line block ×3, first 2 shown]
	v_fmac_f64_e32 v[46:47], s[2:3], v[28:29]
	v_fmac_f64_e32 v[4:5], s[2:3], v[28:29]
	;; [unrolled: 1-line block ×3, first 2 shown]
	v_add_f64 v[50:51], v[18:19], v[24:25]
	v_add_f64 v[30:31], v[30:31], v[24:25]
	v_fmac_f64_e32 v[38:39], s[2:3], v[0:1]
	v_fmac_f64_e32 v[6:7], s[2:3], v[0:1]
	;; [unrolled: 1-line block ×3, first 2 shown]
	v_add_f64 v[20:21], v[46:47], v[2:3]
	v_add_f64 v[18:19], v[36:37], -v[48:49]
	v_add_f64 v[24:25], v[34:35], -v[4:5]
	v_add_f64 v[28:29], v[4:5], v[34:35]
	v_add_f64 v[34:35], v[48:49], v[36:37]
	v_add_f64 v[36:37], v[2:3], -v[46:47]
	v_add_f64 v[0:1], v[228:229], v[242:243]
	v_add_f64 v[46:47], v[226:227], v[238:239]
	;; [unrolled: 1-line block ×9, first 2 shown]
	v_add_f64 v[66:67], v[46:47], -v[0:1]
	v_add_f64 v[0:1], v[0:1], -v[54:55]
	;; [unrolled: 1-line block ×3, first 2 shown]
	v_add_f64 v[54:55], v[54:55], v[62:63]
	v_add_f64 v[22:23], v[50:51], -v[38:39]
	v_add_f64 v[16:17], v[52:53], v[32:33]
	v_add_f64 v[32:33], v[32:33], -v[52:53]
	;; [unrolled: 2-line block ×3, first 2 shown]
	v_add_f64 v[50:51], v[226:227], -v[238:239]
	v_add_f64 v[52:53], v[230:231], -v[240:241]
	;; [unrolled: 1-line block ×7, first 2 shown]
	v_add_f64 v[56:57], v[56:57], v[64:65]
	v_add_f64 v[40:41], v[40:41], v[54:55]
	;; [unrolled: 1-line block ×3, first 2 shown]
	v_add_f64 v[30:31], v[30:31], -v[6:7]
	v_add_f64 v[6:7], v[234:235], -v[244:245]
	v_add_f64 v[70:71], v[58:59], v[50:51]
	v_add_f64 v[76:77], v[60:61], v[52:53]
	v_add_f64 v[78:79], v[58:59], -v[50:51]
	v_add_f64 v[80:81], v[60:61], -v[52:53]
	;; [unrolled: 1-line block ×3, first 2 shown]
	v_add_f64 v[42:43], v[42:43], v[56:57]
	v_pk_mov_b32 v[82:83], v[40:41], v[40:41] op_sel:[0,1]
	v_add_f64 v[58:59], v[4:5], -v[58:59]
	v_add_f64 v[60:61], v[6:7], -v[60:61]
	;; [unrolled: 1-line block ×3, first 2 shown]
	v_add_f64 v[4:5], v[70:71], v[4:5]
	v_add_f64 v[6:7], v[76:77], v[6:7]
	v_mul_f64 v[0:1], v[0:1], s[22:23]
	v_mul_f64 v[2:3], v[2:3], s[22:23]
	;; [unrolled: 1-line block ×7, first 2 shown]
	v_fmac_f64_e32 v[82:83], s[20:21], v[54:55]
	v_pk_mov_b32 v[54:55], v[42:43], v[42:43] op_sel:[0,1]
	v_mul_f64 v[80:81], v[52:53], s[26:27]
	v_fmac_f64_e32 v[54:55], s[20:21], v[56:57]
	v_fma_f64 v[56:57], v[66:67], s[8:9], -v[62:63]
	v_fma_f64 v[62:63], v[68:69], s[8:9], -v[64:65]
	;; [unrolled: 1-line block ×3, first 2 shown]
	v_fmac_f64_e32 v[0:1], s[4:5], v[46:47]
	v_fma_f64 v[46:47], v[68:69], s[16:17], -v[2:3]
	v_fma_f64 v[66:67], v[50:51], s[6:7], -v[70:71]
	;; [unrolled: 1-line block ×3, first 2 shown]
	v_fmac_f64_e32 v[76:77], s[18:19], v[60:61]
	v_fmac_f64_e32 v[78:79], s[14:15], v[58:59]
	;; [unrolled: 1-line block ×5, first 2 shown]
	v_add_f64 v[0:1], v[0:1], v[82:83]
	v_add_f64 v[60:61], v[56:57], v[82:83]
	;; [unrolled: 1-line block ×4, first 2 shown]
	v_fmac_f64_e32 v[76:77], s[2:3], v[6:7]
	v_fmac_f64_e32 v[66:67], s[2:3], v[4:5]
	;; [unrolled: 1-line block ×4, first 2 shown]
	v_add_f64 v[2:3], v[2:3], v[54:55]
	v_add_f64 v[64:65], v[64:65], v[82:83]
	v_fmac_f64_e32 v[70:71], s[2:3], v[4:5]
	v_fmac_f64_e32 v[80:81], s[2:3], v[6:7]
	v_add_f64 v[52:53], v[76:77], v[0:1]
	v_add_f64 v[50:51], v[46:47], -v[78:79]
	v_add_f64 v[56:57], v[60:61], -v[68:69]
	v_add_f64 v[58:59], v[66:67], v[62:63]
	v_add_f64 v[60:61], v[68:69], v[60:61]
	v_add_f64 v[62:63], v[62:63], -v[66:67]
	v_add_f64 v[66:67], v[78:79], v[46:47]
	v_add_f64 v[68:69], v[0:1], -v[76:77]
	v_add_f64 v[0:1], v[206:207], v[218:219]
	v_add_f64 v[46:47], v[200:201], v[214:215]
	v_add_f64 v[54:55], v[2:3], -v[70:71]
	v_add_f64 v[48:49], v[80:81], v[64:65]
	v_add_f64 v[64:65], v[64:65], -v[80:81]
	v_add_f64 v[70:71], v[70:71], v[2:3]
	v_add_f64 v[2:3], v[210:211], v[220:221]
	;; [unrolled: 1-line block ×7, first 2 shown]
	v_add_f64 v[90:91], v[46:47], -v[0:1]
	v_add_f64 v[0:1], v[0:1], -v[80:81]
	;; [unrolled: 1-line block ×3, first 2 shown]
	v_add_f64 v[80:81], v[80:81], v[86:87]
	v_add_f64 v[4:5], v[206:207], -v[218:219]
	v_add_f64 v[78:79], v[200:201], -v[214:215]
	;; [unrolled: 1-line block ×8, first 2 shown]
	v_add_f64 v[82:83], v[82:83], v[88:89]
	v_add_f64 v[72:73], v[72:73], v[80:81]
	v_add_f64 v[6:7], v[210:211], -v[220:221]
	v_add_f64 v[94:95], v[84:85], v[78:79]
	v_add_f64 v[96:97], v[12:13], v[44:45]
	v_add_f64 v[98:99], v[84:85], -v[78:79]
	v_add_f64 v[102:103], v[12:13], -v[44:45]
	;; [unrolled: 1-line block ×3, first 2 shown]
	v_add_f64 v[74:75], v[74:75], v[82:83]
	v_pk_mov_b32 v[198:199], v[72:73], v[72:73] op_sel:[0,1]
	v_add_f64 v[84:85], v[4:5], -v[84:85]
	v_add_f64 v[12:13], v[6:7], -v[12:13]
	;; [unrolled: 1-line block ×3, first 2 shown]
	v_add_f64 v[4:5], v[94:95], v[4:5]
	v_add_f64 v[6:7], v[96:97], v[6:7]
	v_mul_f64 v[0:1], v[0:1], s[22:23]
	v_mul_f64 v[2:3], v[2:3], s[22:23]
	;; [unrolled: 1-line block ×6, first 2 shown]
	v_fmac_f64_e32 v[198:199], s[20:21], v[80:81]
	v_pk_mov_b32 v[80:81], v[74:75], v[74:75] op_sel:[0,1]
	v_mul_f64 v[98:99], v[98:99], s[24:25]
	v_mul_f64 v[102:103], v[44:45], s[26:27]
	v_fmac_f64_e32 v[80:81], s[20:21], v[82:83]
	v_fma_f64 v[82:83], v[90:91], s[8:9], -v[86:87]
	v_fma_f64 v[86:87], v[92:93], s[8:9], -v[88:89]
	;; [unrolled: 1-line block ×3, first 2 shown]
	v_fmac_f64_e32 v[0:1], s[4:5], v[46:47]
	v_fma_f64 v[46:47], v[92:93], s[16:17], -v[2:3]
	v_fma_f64 v[44:45], v[44:45], s[6:7], -v[96:97]
	v_fmac_f64_e32 v[96:97], s[18:19], v[12:13]
	v_fmac_f64_e32 v[94:95], s[14:15], v[84:85]
	;; [unrolled: 1-line block ×3, first 2 shown]
	v_fma_f64 v[90:91], v[78:79], s[6:7], -v[98:99]
	v_fmac_f64_e32 v[98:99], s[18:19], v[84:85]
	v_fmac_f64_e32 v[102:103], s[14:15], v[12:13]
	v_add_f64 v[0:1], v[0:1], v[198:199]
	v_add_f64 v[12:13], v[82:83], v[198:199]
	v_add_f64 v[46:47], v[46:47], v[80:81]
	v_fmac_f64_e32 v[96:97], s[2:3], v[6:7]
	v_fmac_f64_e32 v[44:45], s[2:3], v[6:7]
	;; [unrolled: 1-line block ×3, first 2 shown]
	v_add_f64 v[2:3], v[2:3], v[80:81]
	v_add_f64 v[92:93], v[86:87], v[80:81]
	;; [unrolled: 1-line block ×3, first 2 shown]
	v_fmac_f64_e32 v[98:99], s[2:3], v[4:5]
	v_fmac_f64_e32 v[90:91], s[2:3], v[4:5]
	;; [unrolled: 1-line block ×3, first 2 shown]
	v_add_f64 v[80:81], v[96:97], v[0:1]
	v_add_f64 v[78:79], v[46:47], -v[94:95]
	v_add_f64 v[84:85], v[12:13], -v[44:45]
	v_add_f64 v[88:89], v[44:45], v[12:13]
	v_add_f64 v[94:95], v[94:95], v[46:47]
	v_add_f64 v[96:97], v[0:1], -v[96:97]
	v_add_f64 v[0:1], v[14:15], v[106:107]
	v_add_f64 v[4:5], v[14:15], -v[106:107]
	v_add_f64 v[6:7], v[122:123], -v[100:101]
	v_add_f64 v[12:13], v[120:121], v[110:111]
	v_add_f64 v[14:15], v[118:119], v[104:105]
	v_add_f64 v[44:45], v[120:121], -v[110:111]
	v_add_f64 v[46:47], v[118:119], -v[104:105]
	;; [unrolled: 1-line block ×5, first 2 shown]
	v_add_f64 v[76:77], v[102:103], v[198:199]
	v_add_f64 v[86:87], v[90:91], v[92:93]
	v_add_f64 v[90:91], v[92:93], -v[90:91]
	v_add_f64 v[92:93], v[198:199], -v[102:103]
	v_add_f64 v[98:99], v[98:99], v[2:3]
	v_add_f64 v[2:3], v[122:123], v[100:101]
	;; [unrolled: 1-line block ×7, first 2 shown]
	v_add_f64 v[120:121], v[104:105], -v[44:45]
	v_add_f64 v[122:123], v[106:107], -v[46:47]
	v_add_f64 v[198:199], v[44:45], -v[4:5]
	v_add_f64 v[200:201], v[46:47], -v[6:7]
	v_accvgpr_read_b32 v47, a7
	v_add_f64 v[110:111], v[14:15], v[2:3]
	v_add_f64 v[112:113], v[12:13], -v[0:1]
	v_add_f64 v[0:1], v[0:1], -v[100:101]
	;; [unrolled: 1-line block ×3, first 2 shown]
	v_add_f64 v[100:101], v[100:101], v[108:109]
	v_accvgpr_read_b32 v45, a5
	v_accvgpr_read_b32 v44, a4
	v_add_f64 v[114:115], v[14:15], -v[2:3]
	v_add_f64 v[2:3], v[2:3], -v[102:103]
	;; [unrolled: 1-line block ×3, first 2 shown]
	v_add_f64 v[102:103], v[102:103], v[110:111]
	v_accvgpr_read_b32 v46, a6
	v_add_f64 v[44:45], v[44:45], v[100:101]
	v_add_f64 v[46:47], v[46:47], v[102:103]
	v_mul_f64 v[202:203], v[120:121], s[24:25]
	v_mul_f64 v[120:121], v[122:123], s[24:25]
	v_pk_mov_b32 v[122:123], v[44:45], v[44:45] op_sel:[0,1]
	v_add_f64 v[104:105], v[4:5], -v[104:105]
	v_add_f64 v[106:107], v[6:7], -v[106:107]
	v_add_f64 v[4:5], v[116:117], v[4:5]
	v_add_f64 v[6:7], v[118:119], v[6:7]
	v_mul_f64 v[0:1], v[0:1], s[22:23]
	v_mul_f64 v[2:3], v[2:3], s[22:23]
	v_mul_f64 v[108:109], v[12:13], s[4:5]
	v_mul_f64 v[110:111], v[14:15], s[4:5]
	v_mul_f64 v[118:119], v[198:199], s[26:27]
	v_mul_f64 v[116:117], v[200:201], s[26:27]
	v_fmac_f64_e32 v[122:123], s[20:21], v[100:101]
	v_pk_mov_b32 v[100:101], v[46:47], v[46:47] op_sel:[0,1]
	v_fmac_f64_e32 v[100:101], s[20:21], v[102:103]
	v_fma_f64 v[102:103], v[112:113], s[8:9], -v[108:109]
	v_fma_f64 v[108:109], v[114:115], s[8:9], -v[110:111]
	;; [unrolled: 1-line block ×3, first 2 shown]
	v_fmac_f64_e32 v[0:1], s[4:5], v[12:13]
	v_fma_f64 v[12:13], v[114:115], s[16:17], -v[2:3]
	v_fmac_f64_e32 v[2:3], s[4:5], v[14:15]
	v_fma_f64 v[14:15], v[198:199], s[6:7], -v[202:203]
	;; [unrolled: 2-line block ×3, first 2 shown]
	v_fmac_f64_e32 v[120:121], s[18:19], v[106:107]
	v_fmac_f64_e32 v[118:119], s[14:15], v[104:105]
	;; [unrolled: 1-line block ×3, first 2 shown]
	v_add_f64 v[0:1], v[0:1], v[122:123]
	v_add_f64 v[2:3], v[2:3], v[100:101]
	;; [unrolled: 1-line block ×6, first 2 shown]
	v_fmac_f64_e32 v[202:203], s[2:3], v[4:5]
	v_fmac_f64_e32 v[120:121], s[2:3], v[6:7]
	;; [unrolled: 1-line block ×6, first 2 shown]
	v_add_f64 v[104:105], v[120:121], v[0:1]
	v_add_f64 v[106:107], v[2:3], -v[202:203]
	v_add_f64 v[100:101], v[116:117], v[122:123]
	v_add_f64 v[102:103], v[12:13], -v[118:119]
	v_add_f64 v[108:109], v[114:115], -v[112:113]
	v_add_f64 v[110:111], v[14:15], v[198:199]
	v_add_f64 v[112:113], v[112:113], v[114:115]
	v_add_f64 v[114:115], v[198:199], -v[14:15]
	v_add_f64 v[116:117], v[122:123], -v[116:117]
	v_add_f64 v[118:119], v[118:119], v[12:13]
	v_add_f64 v[120:121], v[0:1], -v[120:121]
	v_add_f64 v[122:123], v[202:203], v[2:3]
	v_add_f64 v[0:1], v[132:133], v[144:145]
	;; [unrolled: 1-line block ×3, first 2 shown]
	v_add_f64 v[4:5], v[132:133], -v[144:145]
	v_add_f64 v[6:7], v[136:137], -v[146:147]
	v_add_f64 v[12:13], v[126:127], v[140:141]
	v_add_f64 v[14:15], v[130:131], v[142:143]
	v_add_f64 v[126:127], v[126:127], -v[140:141]
	v_add_f64 v[130:131], v[130:131], -v[142:143]
	v_add_f64 v[132:133], v[124:125], v[134:135]
	v_add_f64 v[136:137], v[128:129], v[138:139]
	;; [unrolled: 4-line block ×3, first 2 shown]
	v_add_f64 v[140:141], v[12:13], -v[0:1]
	v_add_f64 v[142:143], v[14:15], -v[2:3]
	;; [unrolled: 1-line block ×4, first 2 shown]
	v_add_f64 v[12:13], v[124:125], v[126:127]
	v_add_f64 v[14:15], v[128:129], v[130:131]
	v_add_f64 v[198:199], v[124:125], -v[126:127]
	v_add_f64 v[200:201], v[128:129], -v[130:131]
	;; [unrolled: 1-line block ×6, first 2 shown]
	v_add_f64 v[4:5], v[12:13], v[4:5]
	v_add_f64 v[6:7], v[14:15], v[6:7]
	v_accvgpr_read_b32 v12, a32
	v_add_f64 v[0:1], v[0:1], -v[132:133]
	v_add_f64 v[132:133], v[132:133], v[134:135]
	v_accvgpr_read_b32 v13, a33
	v_add_f64 v[134:135], v[136:137], v[138:139]
	v_accvgpr_read_b32 v14, a34
	v_accvgpr_read_b32 v15, a35
	v_add_f64 v[12:13], v[12:13], v[132:133]
	v_add_f64 v[2:3], v[2:3], -v[136:137]
	v_add_f64 v[14:15], v[14:15], v[134:135]
	v_pk_mov_b32 v[206:207], v[12:13], v[12:13] op_sel:[0,1]
	v_mul_f64 v[0:1], v[0:1], s[22:23]
	v_mul_f64 v[2:3], v[2:3], s[22:23]
	;; [unrolled: 1-line block ×6, first 2 shown]
	v_fmac_f64_e32 v[206:207], s[20:21], v[132:133]
	v_pk_mov_b32 v[132:133], v[14:15], v[14:15] op_sel:[0,1]
	v_mul_f64 v[202:203], v[126:127], s[26:27]
	v_mul_f64 v[204:205], v[130:131], s[26:27]
	v_fmac_f64_e32 v[132:133], s[20:21], v[134:135]
	v_fma_f64 v[134:135], v[140:141], s[8:9], -v[136:137]
	v_fma_f64 v[136:137], v[142:143], s[8:9], -v[138:139]
	;; [unrolled: 1-line block ×3, first 2 shown]
	v_fmac_f64_e32 v[0:1], s[4:5], v[144:145]
	v_fma_f64 v[140:141], v[142:143], s[16:17], -v[2:3]
	v_fmac_f64_e32 v[2:3], s[4:5], v[146:147]
	v_fma_f64 v[142:143], v[126:127], s[6:7], -v[198:199]
	;; [unrolled: 2-line block ×3, first 2 shown]
	v_fmac_f64_e32 v[200:201], s[18:19], v[128:129]
	v_fmac_f64_e32 v[202:203], s[14:15], v[124:125]
	;; [unrolled: 1-line block ×3, first 2 shown]
	v_add_f64 v[0:1], v[0:1], v[206:207]
	v_add_f64 v[2:3], v[2:3], v[132:133]
	;; [unrolled: 1-line block ×3, first 2 shown]
	v_fmac_f64_e32 v[198:199], s[2:3], v[4:5]
	v_fmac_f64_e32 v[200:201], s[2:3], v[6:7]
	;; [unrolled: 1-line block ×3, first 2 shown]
	v_add_f64 v[208:209], v[136:137], v[132:133]
	v_add_f64 v[210:211], v[140:141], v[132:133]
	v_fmac_f64_e32 v[142:143], s[2:3], v[4:5]
	v_fmac_f64_e32 v[202:203], s[2:3], v[4:5]
	;; [unrolled: 1-line block ×3, first 2 shown]
	v_add_f64 v[128:129], v[200:201], v[0:1]
	v_add_f64 v[130:131], v[2:3], -v[198:199]
	v_add_f64 v[132:133], v[146:147], -v[144:145]
	v_add_f64 v[136:137], v[144:145], v[146:147]
	v_add_f64 v[144:145], v[0:1], -v[200:201]
	v_add_f64 v[146:147], v[198:199], v[2:3]
	v_add_f64 v[0:1], v[154:155], v[168:169]
	;; [unrolled: 1-line block ×3, first 2 shown]
	v_add_f64 v[4:5], v[154:155], -v[168:169]
	v_add_f64 v[6:7], v[160:161], -v[170:171]
	v_add_f64 v[154:155], v[152:153], v[164:165]
	v_add_f64 v[160:161], v[156:157], v[166:167]
	v_add_f64 v[152:153], v[152:153], -v[164:165]
	v_add_f64 v[156:157], v[156:157], -v[166:167]
	v_add_f64 v[164:165], v[148:149], v[158:159]
	v_add_f64 v[166:167], v[150:151], v[162:163]
	;; [unrolled: 4-line block ×3, first 2 shown]
	v_add_f64 v[162:163], v[160:161], v[2:3]
	v_add_f64 v[198:199], v[148:149], v[152:153]
	;; [unrolled: 1-line block ×4, first 2 shown]
	v_add_f64 v[126:127], v[210:211], -v[202:203]
	v_add_f64 v[134:135], v[142:143], v[208:209]
	v_add_f64 v[138:139], v[208:209], -v[142:143]
	v_add_f64 v[140:141], v[206:207], -v[204:205]
	v_add_f64 v[142:143], v[202:203], v[210:211]
	v_add_f64 v[168:169], v[154:155], -v[0:1]
	v_add_f64 v[170:171], v[160:161], -v[2:3]
	;; [unrolled: 1-line block ×12, first 2 shown]
	v_add_f64 v[158:159], v[164:165], v[158:159]
	v_add_f64 v[162:163], v[166:167], v[162:163]
	;; [unrolled: 1-line block ×4, first 2 shown]
	v_accvgpr_read_b32 v4, a8
	v_accvgpr_read_b32 v5, a9
	;; [unrolled: 1-line block ×4, first 2 shown]
	v_add_f64 v[4:5], v[4:5], v[158:159]
	v_add_f64 v[6:7], v[6:7], v[162:163]
	v_pk_mov_b32 v[210:211], v[4:5], v[4:5] op_sel:[0,1]
	v_mul_f64 v[0:1], v[0:1], s[22:23]
	v_mul_f64 v[2:3], v[2:3], s[22:23]
	v_mul_f64 v[198:199], v[154:155], s[4:5]
	v_mul_f64 v[200:201], v[160:161], s[4:5]
	v_mul_f64 v[202:203], v[202:203], s[24:25]
	v_mul_f64 v[204:205], v[204:205], s[24:25]
	v_mul_f64 v[208:209], v[156:157], s[26:27]
	v_fmac_f64_e32 v[210:211], s[20:21], v[158:159]
	v_pk_mov_b32 v[158:159], v[6:7], v[6:7] op_sel:[0,1]
	v_mul_f64 v[206:207], v[152:153], s[26:27]
	v_fmac_f64_e32 v[158:159], s[20:21], v[162:163]
	v_fma_f64 v[162:163], v[168:169], s[8:9], -v[198:199]
	v_fma_f64 v[198:199], v[170:171], s[8:9], -v[200:201]
	v_fma_f64 v[168:169], v[168:169], s[16:17], -v[0:1]
	v_fmac_f64_e32 v[0:1], s[4:5], v[154:155]
	v_fma_f64 v[154:155], v[170:171], s[16:17], -v[2:3]
	v_fmac_f64_e32 v[2:3], s[4:5], v[160:161]
	v_fma_f64 v[170:171], v[152:153], s[6:7], -v[202:203]
	v_fmac_f64_e32 v[202:203], s[18:19], v[148:149]
	v_fma_f64 v[156:157], v[156:157], s[6:7], -v[204:205]
	v_fmac_f64_e32 v[204:205], s[18:19], v[150:151]
	v_fmac_f64_e32 v[208:209], s[14:15], v[150:151]
	;; [unrolled: 1-line block ×3, first 2 shown]
	v_add_f64 v[0:1], v[0:1], v[210:211]
	v_add_f64 v[2:3], v[2:3], v[158:159]
	;; [unrolled: 1-line block ×4, first 2 shown]
	v_fmac_f64_e32 v[202:203], s[2:3], v[164:165]
	v_fmac_f64_e32 v[204:205], s[2:3], v[166:167]
	;; [unrolled: 1-line block ×4, first 2 shown]
	v_add_f64 v[200:201], v[162:163], v[210:211]
	v_add_f64 v[210:211], v[154:155], v[158:159]
	v_fmac_f64_e32 v[156:157], s[2:3], v[166:167]
	v_fmac_f64_e32 v[206:207], s[2:3], v[164:165]
	v_add_f64 v[152:153], v[204:205], v[0:1]
	v_add_f64 v[154:155], v[2:3], -v[202:203]
	v_add_f64 v[148:149], v[208:209], v[168:169]
	v_add_f64 v[162:163], v[170:171], v[198:199]
	v_add_f64 v[158:159], v[198:199], -v[170:171]
	v_add_f64 v[164:165], v[168:169], -v[208:209]
	;; [unrolled: 1-line block ×3, first 2 shown]
	v_add_f64 v[170:171], v[202:203], v[2:3]
	v_add_f64 v[0:1], v[182:183], v[192:193]
	;; [unrolled: 1-line block ×3, first 2 shown]
	v_add_f64 v[182:183], v[182:183], -v[192:193]
	v_add_f64 v[186:187], v[186:187], -v[194:195]
	v_add_f64 v[192:193], v[176:177], v[188:189]
	v_add_f64 v[194:195], v[180:181], v[190:191]
	v_add_f64 v[176:177], v[176:177], -v[188:189]
	v_add_f64 v[180:181], v[180:181], -v[190:191]
	v_add_f64 v[188:189], v[172:173], v[178:179]
	v_add_f64 v[190:191], v[174:175], v[184:185]
	v_add_f64 v[172:173], v[178:179], -v[172:173]
	v_add_f64 v[174:175], v[184:185], -v[174:175]
	;; [unrolled: 1-line block ×3, first 2 shown]
	v_add_f64 v[156:157], v[156:157], v[200:201]
	v_add_f64 v[178:179], v[192:193], v[0:1]
	;; [unrolled: 1-line block ×3, first 2 shown]
	v_add_f64 v[198:199], v[192:193], -v[0:1]
	v_add_f64 v[200:201], v[194:195], -v[2:3]
	;; [unrolled: 1-line block ×4, first 2 shown]
	v_add_f64 v[0:1], v[172:173], v[176:177]
	v_add_f64 v[2:3], v[174:175], v[180:181]
	v_add_f64 v[150:151], v[210:211], -v[206:207]
	v_add_f64 v[166:167], v[206:207], v[210:211]
	v_add_f64 v[206:207], v[172:173], -v[176:177]
	v_add_f64 v[208:209], v[174:175], -v[180:181]
	;; [unrolled: 1-line block ×6, first 2 shown]
	v_add_f64 v[182:183], v[0:1], v[182:183]
	v_add_f64 v[186:187], v[2:3], v[186:187]
	v_accvgpr_read_b32 v0, a0
	v_add_f64 v[178:179], v[188:189], v[178:179]
	v_accvgpr_read_b32 v1, a1
	;; [unrolled: 2-line block ×3, first 2 shown]
	v_accvgpr_read_b32 v3, a3
	v_add_f64 v[0:1], v[0:1], v[178:179]
	v_add_f64 v[192:193], v[188:189], -v[192:193]
	v_add_f64 v[194:195], v[190:191], -v[194:195]
	v_add_f64 v[2:3], v[2:3], v[184:185]
	v_pk_mov_b32 v[214:215], v[0:1], v[0:1] op_sel:[0,1]
	v_mul_f64 v[188:189], v[202:203], s[22:23]
	v_mul_f64 v[190:191], v[204:205], s[22:23]
	;; [unrolled: 1-line block ×8, first 2 shown]
	v_fmac_f64_e32 v[214:215], s[20:21], v[178:179]
	v_pk_mov_b32 v[178:179], v[2:3], v[2:3] op_sel:[0,1]
	v_fmac_f64_e32 v[178:179], s[20:21], v[184:185]
	v_fma_f64 v[184:185], s[4:5], v[192:193], v[188:189]
	v_fma_f64 v[192:193], v[198:199], s[8:9], -v[202:203]
	v_fma_f64 v[202:203], v[200:201], s[8:9], -v[204:205]
	;; [unrolled: 1-line block ×4, first 2 shown]
	v_fmac_f64_e32 v[190:191], s[4:5], v[194:195]
	v_fma_f64 v[194:195], s[18:19], v[172:173], v[206:207]
	v_fma_f64 v[200:201], v[176:177], s[6:7], -v[206:207]
	v_fma_f64 v[204:205], v[180:181], s[6:7], -v[208:209]
	v_fmac_f64_e32 v[208:209], s[18:19], v[174:175]
	v_fmac_f64_e32 v[210:211], s[14:15], v[172:173]
	;; [unrolled: 1-line block ×3, first 2 shown]
	v_add_f64 v[206:207], v[184:185], v[214:215]
	v_add_f64 v[216:217], v[190:191], v[178:179]
	;; [unrolled: 1-line block ×6, first 2 shown]
	v_fmac_f64_e32 v[194:195], s[2:3], v[182:183]
	v_fmac_f64_e32 v[208:209], s[2:3], v[186:187]
	;; [unrolled: 1-line block ×6, first 2 shown]
	v_add_f64 v[176:177], v[208:209], v[206:207]
	v_add_f64 v[178:179], v[216:217], -v[194:195]
	v_add_f64 v[172:173], v[212:213], v[188:189]
	v_add_f64 v[174:175], v[192:193], -v[210:211]
	v_add_f64 v[180:181], v[184:185], -v[204:205]
	v_add_f64 v[182:183], v[200:201], v[190:191]
	v_add_f64 v[184:185], v[204:205], v[184:185]
	v_add_f64 v[186:187], v[190:191], -v[200:201]
	v_add_f64 v[188:189], v[188:189], -v[212:213]
	v_add_f64 v[190:191], v[210:211], v[192:193]
	v_add_f64 v[192:193], v[206:207], -v[208:209]
	v_add_f64 v[194:195], v[194:195], v[216:217]
	ds_write_b128 v196, v[8:11]
	ds_write_b128 v196, v[20:23] offset:5488
	ds_write_b128 v196, v[16:19] offset:10976
	;; [unrolled: 1-line block ×48, first 2 shown]
	s_waitcnt lgkmcnt(0)
	; wave barrier
	s_waitcnt lgkmcnt(0)
	ds_read_b128 v[0:3], v196
	buffer_load_dword v6, off, s[40:43], 0 offset:4 ; 4-byte Folded Reload
	buffer_load_dword v7, off, s[40:43], 0 offset:8 ; 4-byte Folded Reload
	;; [unrolled: 1-line block ×4, first 2 shown]
	s_mov_b32 s2, 0x5cf97efd
	s_mov_b32 s3, 0x3f3b4b98
	s_waitcnt vmcnt(0) lgkmcnt(0)
	v_mul_f64 v[4:5], v[8:9], v[2:3]
	v_fmac_f64_e32 v[4:5], v[6:7], v[0:1]
	v_mul_f64 v[0:1], v[8:9], v[0:1]
	v_fma_f64 v[0:1], v[6:7], v[2:3], -v[0:1]
	buffer_load_dword v3, off, s[40:43], 0  ; 4-byte Folded Reload
	v_mul_f64 v[6:7], v[0:1], s[2:3]
	v_mov_b32_e32 v8, s13
	v_mul_f64 v[4:5], v[4:5], s[2:3]
	s_waitcnt vmcnt(0)
	v_mad_u64_u32 v[0:1], s[4:5], s0, v3, 0
	v_mov_b32_e32 v2, v1
	v_mad_u64_u32 v[2:3], s[4:5], s1, v3, v[2:3]
	v_mov_b32_e32 v1, v2
	buffer_load_dword v2, off, s[40:43], 0 offset:788 ; 4-byte Folded Reload
	buffer_load_dword v3, off, s[40:43], 0 offset:792 ; 4-byte Folded Reload
	v_lshlrev_b64 v[0:1], 4, v[0:1]
	s_waitcnt vmcnt(0)
	v_lshlrev_b64 v[2:3], 4, v[2:3]
	v_add_co_u32_e32 v2, vcc, s12, v2
	v_addc_co_u32_e32 v3, vcc, v8, v3, vcc
	v_add_co_u32_e32 v8, vcc, v2, v0
	v_addc_co_u32_e32 v9, vcc, v3, v1, vcc
	global_store_dwordx4 v[8:9], v[4:7], off
	ds_read_b128 v[0:3], v196 offset:5488
	buffer_load_dword v10, off, s[40:43], 0 offset:20 ; 4-byte Folded Reload
	buffer_load_dword v11, off, s[40:43], 0 offset:24 ; 4-byte Folded Reload
	;; [unrolled: 1-line block ×4, first 2 shown]
	v_mad_u64_u32 v[8:9], s[4:5], s0, v197, v[8:9]
	s_mul_i32 s4, s1, 0x1570
	v_add_u32_e32 v9, s4, v9
	s_mulk_i32 s1, 0x8270
	s_sub_i32 s1, s1, s0
	s_waitcnt vmcnt(0) lgkmcnt(0)
	v_mul_f64 v[4:5], v[12:13], v[2:3]
	v_fmac_f64_e32 v[4:5], v[10:11], v[0:1]
	v_mul_f64 v[0:1], v[12:13], v[0:1]
	v_fma_f64 v[0:1], v[10:11], v[2:3], -v[0:1]
	v_mul_f64 v[4:5], v[4:5], s[2:3]
	v_mul_f64 v[6:7], v[0:1], s[2:3]
	global_store_dwordx4 v[8:9], v[4:7], off
	ds_read_b128 v[0:3], v196 offset:10976
	buffer_load_dword v10, off, s[40:43], 0 offset:36 ; 4-byte Folded Reload
	buffer_load_dword v11, off, s[40:43], 0 offset:40 ; 4-byte Folded Reload
	buffer_load_dword v12, off, s[40:43], 0 offset:44 ; 4-byte Folded Reload
	buffer_load_dword v13, off, s[40:43], 0 offset:48 ; 4-byte Folded Reload
	v_mad_u64_u32 v[8:9], s[6:7], s0, v197, v[8:9]
	v_add_u32_e32 v9, s4, v9
	s_waitcnt vmcnt(0) lgkmcnt(0)
	v_mul_f64 v[4:5], v[12:13], v[2:3]
	v_fmac_f64_e32 v[4:5], v[10:11], v[0:1]
	v_mul_f64 v[0:1], v[12:13], v[0:1]
	v_fma_f64 v[0:1], v[10:11], v[2:3], -v[0:1]
	v_mul_f64 v[4:5], v[4:5], s[2:3]
	v_mul_f64 v[6:7], v[0:1], s[2:3]
	global_store_dwordx4 v[8:9], v[4:7], off
	ds_read_b128 v[0:3], v196 offset:16464
	buffer_load_dword v10, off, s[40:43], 0 offset:52 ; 4-byte Folded Reload
	buffer_load_dword v11, off, s[40:43], 0 offset:56 ; 4-byte Folded Reload
	buffer_load_dword v12, off, s[40:43], 0 offset:60 ; 4-byte Folded Reload
	buffer_load_dword v13, off, s[40:43], 0 offset:64 ; 4-byte Folded Reload
	v_mad_u64_u32 v[8:9], s[6:7], s0, v197, v[8:9]
	v_add_u32_e32 v9, s4, v9
	;; [unrolled: 15-line block ×5, first 2 shown]
	s_waitcnt vmcnt(0) lgkmcnt(0)
	v_mul_f64 v[4:5], v[12:13], v[2:3]
	v_fmac_f64_e32 v[4:5], v[10:11], v[0:1]
	v_mul_f64 v[0:1], v[12:13], v[0:1]
	v_fma_f64 v[0:1], v[10:11], v[2:3], -v[0:1]
	v_mul_f64 v[4:5], v[4:5], s[2:3]
	v_mul_f64 v[6:7], v[0:1], s[2:3]
	global_store_dwordx4 v[8:9], v[4:7], off
	ds_read_b128 v[0:3], v196 offset:784
	buffer_load_dword v10, off, s[40:43], 0 offset:164 ; 4-byte Folded Reload
	buffer_load_dword v11, off, s[40:43], 0 offset:168 ; 4-byte Folded Reload
	;; [unrolled: 1-line block ×4, first 2 shown]
	s_waitcnt vmcnt(0) lgkmcnt(0)
	v_mul_f64 v[4:5], v[12:13], v[2:3]
	v_fmac_f64_e32 v[4:5], v[10:11], v[0:1]
	v_mul_f64 v[0:1], v[12:13], v[0:1]
	v_fma_f64 v[0:1], v[10:11], v[2:3], -v[0:1]
	v_mov_b32_e32 v10, 0xffff8270
	v_mad_u64_u32 v[8:9], s[6:7], s0, v10, v[8:9]
	v_mul_f64 v[4:5], v[4:5], s[2:3]
	v_mul_f64 v[6:7], v[0:1], s[2:3]
	v_add_u32_e32 v9, s1, v9
	global_store_dwordx4 v[8:9], v[4:7], off
	ds_read_b128 v[0:3], v196 offset:6272
	buffer_load_dword v12, off, s[40:43], 0 offset:148 ; 4-byte Folded Reload
	buffer_load_dword v13, off, s[40:43], 0 offset:152 ; 4-byte Folded Reload
	buffer_load_dword v14, off, s[40:43], 0 offset:156 ; 4-byte Folded Reload
	buffer_load_dword v15, off, s[40:43], 0 offset:160 ; 4-byte Folded Reload
	v_mad_u64_u32 v[8:9], s[6:7], s0, v197, v[8:9]
	v_add_u32_e32 v9, s4, v9
	s_waitcnt vmcnt(0) lgkmcnt(0)
	v_mul_f64 v[4:5], v[14:15], v[2:3]
	v_fmac_f64_e32 v[4:5], v[12:13], v[0:1]
	v_mul_f64 v[0:1], v[14:15], v[0:1]
	v_fma_f64 v[0:1], v[12:13], v[2:3], -v[0:1]
	v_mul_f64 v[4:5], v[4:5], s[2:3]
	v_mul_f64 v[6:7], v[0:1], s[2:3]
	global_store_dwordx4 v[8:9], v[4:7], off
	ds_read_b128 v[0:3], v196 offset:11760
	buffer_load_dword v12, off, s[40:43], 0 offset:132 ; 4-byte Folded Reload
	buffer_load_dword v13, off, s[40:43], 0 offset:136 ; 4-byte Folded Reload
	buffer_load_dword v14, off, s[40:43], 0 offset:140 ; 4-byte Folded Reload
	buffer_load_dword v15, off, s[40:43], 0 offset:144 ; 4-byte Folded Reload
	v_mad_u64_u32 v[8:9], s[6:7], s0, v197, v[8:9]
	v_add_u32_e32 v9, s4, v9
	s_waitcnt vmcnt(0) lgkmcnt(0)
	v_mul_f64 v[4:5], v[14:15], v[2:3]
	v_fmac_f64_e32 v[4:5], v[12:13], v[0:1]
	v_mul_f64 v[0:1], v[14:15], v[0:1]
	v_fma_f64 v[0:1], v[12:13], v[2:3], -v[0:1]
	v_mul_f64 v[4:5], v[4:5], s[2:3]
	v_mul_f64 v[6:7], v[0:1], s[2:3]
	;; [unrolled: 15-line block ×6, first 2 shown]
	global_store_dwordx4 v[8:9], v[4:7], off
	ds_read_b128 v[0:3], v196 offset:1568
	buffer_load_dword v12, off, s[40:43], 0 offset:404 ; 4-byte Folded Reload
	buffer_load_dword v13, off, s[40:43], 0 offset:408 ; 4-byte Folded Reload
	;; [unrolled: 1-line block ×4, first 2 shown]
	v_mad_u64_u32 v[8:9], s[6:7], s0, v10, v[8:9]
	v_add_u32_e32 v9, s1, v9
	v_mov_b32_e32 v10, 0xffff8270
	s_waitcnt vmcnt(0) lgkmcnt(0)
	v_mul_f64 v[4:5], v[14:15], v[2:3]
	v_fmac_f64_e32 v[4:5], v[12:13], v[0:1]
	v_mul_f64 v[0:1], v[14:15], v[0:1]
	v_fma_f64 v[0:1], v[12:13], v[2:3], -v[0:1]
	v_mul_f64 v[4:5], v[4:5], s[2:3]
	v_mul_f64 v[6:7], v[0:1], s[2:3]
	global_store_dwordx4 v[8:9], v[4:7], off
	ds_read_b128 v[0:3], v196 offset:7056
	buffer_load_dword v12, off, s[40:43], 0 offset:356 ; 4-byte Folded Reload
	buffer_load_dword v13, off, s[40:43], 0 offset:360 ; 4-byte Folded Reload
	buffer_load_dword v14, off, s[40:43], 0 offset:364 ; 4-byte Folded Reload
	buffer_load_dword v15, off, s[40:43], 0 offset:368 ; 4-byte Folded Reload
	v_mad_u64_u32 v[8:9], s[6:7], s0, v197, v[8:9]
	v_add_u32_e32 v9, s4, v9
	s_waitcnt vmcnt(0) lgkmcnt(0)
	v_mul_f64 v[4:5], v[14:15], v[2:3]
	v_fmac_f64_e32 v[4:5], v[12:13], v[0:1]
	v_mul_f64 v[0:1], v[14:15], v[0:1]
	v_fma_f64 v[0:1], v[12:13], v[2:3], -v[0:1]
	v_mul_f64 v[4:5], v[4:5], s[2:3]
	v_mul_f64 v[6:7], v[0:1], s[2:3]
	global_store_dwordx4 v[8:9], v[4:7], off
	ds_read_b128 v[0:3], v196 offset:12544
	buffer_load_dword v12, off, s[40:43], 0 offset:372 ; 4-byte Folded Reload
	buffer_load_dword v13, off, s[40:43], 0 offset:376 ; 4-byte Folded Reload
	buffer_load_dword v14, off, s[40:43], 0 offset:380 ; 4-byte Folded Reload
	buffer_load_dword v15, off, s[40:43], 0 offset:384 ; 4-byte Folded Reload
	v_mad_u64_u32 v[8:9], s[6:7], s0, v197, v[8:9]
	v_add_u32_e32 v9, s4, v9
	s_waitcnt vmcnt(0) lgkmcnt(0)
	v_mul_f64 v[4:5], v[14:15], v[2:3]
	v_fmac_f64_e32 v[4:5], v[12:13], v[0:1]
	v_mul_f64 v[0:1], v[14:15], v[0:1]
	v_fma_f64 v[0:1], v[12:13], v[2:3], -v[0:1]
	v_mul_f64 v[4:5], v[4:5], s[2:3]
	v_mul_f64 v[6:7], v[0:1], s[2:3]
	global_store_dwordx4 v[8:9], v[4:7], off
	ds_read_b128 v[0:3], v196 offset:18032
	buffer_load_dword v12, off, s[40:43], 0 offset:324 ; 4-byte Folded Reload
	buffer_load_dword v13, off, s[40:43], 0 offset:328 ; 4-byte Folded Reload
	buffer_load_dword v14, off, s[40:43], 0 offset:332 ; 4-byte Folded Reload
	buffer_load_dword v15, off, s[40:43], 0 offset:336 ; 4-byte Folded Reload
	v_mad_u64_u32 v[8:9], s[6:7], s0, v197, v[8:9]
	v_add_u32_e32 v9, s4, v9
	s_waitcnt vmcnt(0) lgkmcnt(0)
	v_mul_f64 v[4:5], v[14:15], v[2:3]
	v_fmac_f64_e32 v[4:5], v[12:13], v[0:1]
	v_mul_f64 v[0:1], v[14:15], v[0:1]
	v_fma_f64 v[0:1], v[12:13], v[2:3], -v[0:1]
	v_mul_f64 v[4:5], v[4:5], s[2:3]
	v_mul_f64 v[6:7], v[0:1], s[2:3]
	global_store_dwordx4 v[8:9], v[4:7], off
	ds_read_b128 v[0:3], v196 offset:23520
	buffer_load_dword v12, off, s[40:43], 0 offset:276 ; 4-byte Folded Reload
	buffer_load_dword v13, off, s[40:43], 0 offset:280 ; 4-byte Folded Reload
	buffer_load_dword v14, off, s[40:43], 0 offset:284 ; 4-byte Folded Reload
	buffer_load_dword v15, off, s[40:43], 0 offset:288 ; 4-byte Folded Reload
	v_mad_u64_u32 v[8:9], s[6:7], s0, v197, v[8:9]
	v_add_u32_e32 v9, s4, v9
	s_waitcnt vmcnt(0) lgkmcnt(0)
	v_mul_f64 v[4:5], v[14:15], v[2:3]
	v_fmac_f64_e32 v[4:5], v[12:13], v[0:1]
	v_mul_f64 v[0:1], v[14:15], v[0:1]
	v_fma_f64 v[0:1], v[12:13], v[2:3], -v[0:1]
	v_mul_f64 v[4:5], v[4:5], s[2:3]
	v_mul_f64 v[6:7], v[0:1], s[2:3]
	global_store_dwordx4 v[8:9], v[4:7], off
	ds_read_b128 v[0:3], v196 offset:29008
	buffer_load_dword v12, off, s[40:43], 0 offset:292 ; 4-byte Folded Reload
	buffer_load_dword v13, off, s[40:43], 0 offset:296 ; 4-byte Folded Reload
	buffer_load_dword v14, off, s[40:43], 0 offset:300 ; 4-byte Folded Reload
	buffer_load_dword v15, off, s[40:43], 0 offset:304 ; 4-byte Folded Reload
	v_mad_u64_u32 v[8:9], s[6:7], s0, v197, v[8:9]
	v_add_u32_e32 v9, s4, v9
	s_waitcnt vmcnt(0) lgkmcnt(0)
	v_mul_f64 v[4:5], v[14:15], v[2:3]
	v_fmac_f64_e32 v[4:5], v[12:13], v[0:1]
	v_mul_f64 v[0:1], v[14:15], v[0:1]
	v_fma_f64 v[0:1], v[12:13], v[2:3], -v[0:1]
	v_mul_f64 v[4:5], v[4:5], s[2:3]
	v_mul_f64 v[6:7], v[0:1], s[2:3]
	global_store_dwordx4 v[8:9], v[4:7], off
	ds_read_b128 v[0:3], v196 offset:34496
	buffer_load_dword v12, off, s[40:43], 0 offset:244 ; 4-byte Folded Reload
	buffer_load_dword v13, off, s[40:43], 0 offset:248 ; 4-byte Folded Reload
	buffer_load_dword v14, off, s[40:43], 0 offset:252 ; 4-byte Folded Reload
	buffer_load_dword v15, off, s[40:43], 0 offset:256 ; 4-byte Folded Reload
	v_mad_u64_u32 v[8:9], s[6:7], s0, v197, v[8:9]
	v_add_u32_e32 v9, s4, v9
	s_waitcnt vmcnt(0) lgkmcnt(0)
	v_mul_f64 v[4:5], v[14:15], v[2:3]
	v_fmac_f64_e32 v[4:5], v[12:13], v[0:1]
	v_mul_f64 v[0:1], v[14:15], v[0:1]
	v_fma_f64 v[0:1], v[12:13], v[2:3], -v[0:1]
	v_mul_f64 v[4:5], v[4:5], s[2:3]
	v_mul_f64 v[6:7], v[0:1], s[2:3]
	global_store_dwordx4 v[8:9], v[4:7], off
	ds_read_b128 v[0:3], v196 offset:2352
	buffer_load_dword v12, off, s[40:43], 0 offset:308 ; 4-byte Folded Reload
	buffer_load_dword v13, off, s[40:43], 0 offset:312 ; 4-byte Folded Reload
	buffer_load_dword v14, off, s[40:43], 0 offset:316 ; 4-byte Folded Reload
	buffer_load_dword v15, off, s[40:43], 0 offset:320 ; 4-byte Folded Reload
	v_mad_u64_u32 v[8:9], s[6:7], s0, v10, v[8:9]
	v_add_u32_e32 v9, s1, v9
	s_waitcnt vmcnt(0) lgkmcnt(0)
	v_mul_f64 v[4:5], v[14:15], v[2:3]
	v_fmac_f64_e32 v[4:5], v[12:13], v[0:1]
	v_mul_f64 v[0:1], v[14:15], v[0:1]
	v_fma_f64 v[0:1], v[12:13], v[2:3], -v[0:1]
	v_mul_f64 v[4:5], v[4:5], s[2:3]
	v_mul_f64 v[6:7], v[0:1], s[2:3]
	global_store_dwordx4 v[8:9], v[4:7], off
	ds_read_b128 v[0:3], v196 offset:7840
	buffer_load_dword v12, off, s[40:43], 0 offset:260 ; 4-byte Folded Reload
	buffer_load_dword v13, off, s[40:43], 0 offset:264 ; 4-byte Folded Reload
	buffer_load_dword v14, off, s[40:43], 0 offset:268 ; 4-byte Folded Reload
	buffer_load_dword v15, off, s[40:43], 0 offset:272 ; 4-byte Folded Reload
	v_mad_u64_u32 v[8:9], s[6:7], s0, v197, v[8:9]
	v_add_u32_e32 v9, s4, v9
	s_waitcnt vmcnt(0) lgkmcnt(0)
	v_mul_f64 v[4:5], v[14:15], v[2:3]
	v_fmac_f64_e32 v[4:5], v[12:13], v[0:1]
	v_mul_f64 v[0:1], v[14:15], v[0:1]
	v_fma_f64 v[0:1], v[12:13], v[2:3], -v[0:1]
	v_mul_f64 v[4:5], v[4:5], s[2:3]
	v_mul_f64 v[6:7], v[0:1], s[2:3]
	global_store_dwordx4 v[8:9], v[4:7], off
	ds_read_b128 v[0:3], v196 offset:13328
	buffer_load_dword v12, off, s[40:43], 0 offset:228 ; 4-byte Folded Reload
	buffer_load_dword v13, off, s[40:43], 0 offset:232 ; 4-byte Folded Reload
	buffer_load_dword v14, off, s[40:43], 0 offset:236 ; 4-byte Folded Reload
	buffer_load_dword v15, off, s[40:43], 0 offset:240 ; 4-byte Folded Reload
	v_mad_u64_u32 v[8:9], s[6:7], s0, v197, v[8:9]
	v_add_u32_e32 v9, s4, v9
	s_waitcnt vmcnt(0) lgkmcnt(0)
	v_mul_f64 v[4:5], v[14:15], v[2:3]
	v_fmac_f64_e32 v[4:5], v[12:13], v[0:1]
	v_mul_f64 v[0:1], v[14:15], v[0:1]
	v_fma_f64 v[0:1], v[12:13], v[2:3], -v[0:1]
	v_mul_f64 v[4:5], v[4:5], s[2:3]
	v_mul_f64 v[6:7], v[0:1], s[2:3]
	global_store_dwordx4 v[8:9], v[4:7], off
	ds_read_b128 v[0:3], v196 offset:18816
	buffer_load_dword v12, off, s[40:43], 0 offset:212 ; 4-byte Folded Reload
	buffer_load_dword v13, off, s[40:43], 0 offset:216 ; 4-byte Folded Reload
	buffer_load_dword v14, off, s[40:43], 0 offset:220 ; 4-byte Folded Reload
	buffer_load_dword v15, off, s[40:43], 0 offset:224 ; 4-byte Folded Reload
	v_mad_u64_u32 v[8:9], s[6:7], s0, v197, v[8:9]
	v_add_u32_e32 v9, s4, v9
	s_waitcnt vmcnt(0) lgkmcnt(0)
	v_mul_f64 v[4:5], v[14:15], v[2:3]
	v_fmac_f64_e32 v[4:5], v[12:13], v[0:1]
	v_mul_f64 v[0:1], v[14:15], v[0:1]
	v_fma_f64 v[0:1], v[12:13], v[2:3], -v[0:1]
	v_mul_f64 v[4:5], v[4:5], s[2:3]
	v_mul_f64 v[6:7], v[0:1], s[2:3]
	global_store_dwordx4 v[8:9], v[4:7], off
	ds_read_b128 v[0:3], v196 offset:24304
	buffer_load_dword v12, off, s[40:43], 0 offset:196 ; 4-byte Folded Reload
	buffer_load_dword v13, off, s[40:43], 0 offset:200 ; 4-byte Folded Reload
	buffer_load_dword v14, off, s[40:43], 0 offset:204 ; 4-byte Folded Reload
	buffer_load_dword v15, off, s[40:43], 0 offset:208 ; 4-byte Folded Reload
	v_mad_u64_u32 v[8:9], s[6:7], s0, v197, v[8:9]
	v_add_u32_e32 v9, s4, v9
	s_waitcnt vmcnt(0) lgkmcnt(0)
	v_mul_f64 v[4:5], v[14:15], v[2:3]
	v_fmac_f64_e32 v[4:5], v[12:13], v[0:1]
	v_mul_f64 v[0:1], v[14:15], v[0:1]
	v_fma_f64 v[0:1], v[12:13], v[2:3], -v[0:1]
	v_mul_f64 v[4:5], v[4:5], s[2:3]
	v_mul_f64 v[6:7], v[0:1], s[2:3]
	global_store_dwordx4 v[8:9], v[4:7], off
	ds_read_b128 v[0:3], v196 offset:29792
	buffer_load_dword v12, off, s[40:43], 0 offset:180 ; 4-byte Folded Reload
	buffer_load_dword v13, off, s[40:43], 0 offset:184 ; 4-byte Folded Reload
	buffer_load_dword v14, off, s[40:43], 0 offset:188 ; 4-byte Folded Reload
	buffer_load_dword v15, off, s[40:43], 0 offset:192 ; 4-byte Folded Reload
	v_mad_u64_u32 v[8:9], s[6:7], s0, v197, v[8:9]
	v_add_u32_e32 v9, s4, v9
	s_waitcnt vmcnt(0) lgkmcnt(0)
	v_mul_f64 v[4:5], v[14:15], v[2:3]
	v_fmac_f64_e32 v[4:5], v[12:13], v[0:1]
	v_mul_f64 v[0:1], v[14:15], v[0:1]
	v_fma_f64 v[0:1], v[12:13], v[2:3], -v[0:1]
	v_mul_f64 v[4:5], v[4:5], s[2:3]
	v_mul_f64 v[6:7], v[0:1], s[2:3]
	global_store_dwordx4 v[8:9], v[4:7], off
	ds_read_b128 v[0:3], v196 offset:35280
	buffer_load_dword v12, off, s[40:43], 0 offset:644 ; 4-byte Folded Reload
	buffer_load_dword v13, off, s[40:43], 0 offset:648 ; 4-byte Folded Reload
	buffer_load_dword v14, off, s[40:43], 0 offset:652 ; 4-byte Folded Reload
	buffer_load_dword v15, off, s[40:43], 0 offset:656 ; 4-byte Folded Reload
	v_mad_u64_u32 v[8:9], s[6:7], s0, v197, v[8:9]
	v_add_u32_e32 v9, s4, v9
	s_waitcnt vmcnt(0) lgkmcnt(0)
	v_mul_f64 v[4:5], v[14:15], v[2:3]
	v_fmac_f64_e32 v[4:5], v[12:13], v[0:1]
	v_mul_f64 v[0:1], v[14:15], v[0:1]
	v_fma_f64 v[0:1], v[12:13], v[2:3], -v[0:1]
	v_mul_f64 v[4:5], v[4:5], s[2:3]
	v_mul_f64 v[6:7], v[0:1], s[2:3]
	global_store_dwordx4 v[8:9], v[4:7], off
	ds_read_b128 v[0:3], v196 offset:3136
	buffer_load_dword v12, off, s[40:43], 0 offset:628 ; 4-byte Folded Reload
	buffer_load_dword v13, off, s[40:43], 0 offset:632 ; 4-byte Folded Reload
	buffer_load_dword v14, off, s[40:43], 0 offset:636 ; 4-byte Folded Reload
	buffer_load_dword v15, off, s[40:43], 0 offset:640 ; 4-byte Folded Reload
	v_mad_u64_u32 v[8:9], s[6:7], s0, v10, v[8:9]
	v_add_u32_e32 v9, s1, v9
	s_waitcnt vmcnt(0) lgkmcnt(0)
	v_mul_f64 v[4:5], v[14:15], v[2:3]
	v_fmac_f64_e32 v[4:5], v[12:13], v[0:1]
	v_mul_f64 v[0:1], v[14:15], v[0:1]
	v_fma_f64 v[0:1], v[12:13], v[2:3], -v[0:1]
	v_mul_f64 v[4:5], v[4:5], s[2:3]
	v_mul_f64 v[6:7], v[0:1], s[2:3]
	global_store_dwordx4 v[8:9], v[4:7], off
	ds_read_b128 v[0:3], v196 offset:8624
	buffer_load_dword v12, off, s[40:43], 0 offset:612 ; 4-byte Folded Reload
	buffer_load_dword v13, off, s[40:43], 0 offset:616 ; 4-byte Folded Reload
	buffer_load_dword v14, off, s[40:43], 0 offset:620 ; 4-byte Folded Reload
	buffer_load_dword v15, off, s[40:43], 0 offset:624 ; 4-byte Folded Reload
	v_mad_u64_u32 v[8:9], s[6:7], s0, v197, v[8:9]
	v_add_u32_e32 v9, s4, v9
	s_waitcnt vmcnt(0) lgkmcnt(0)
	v_mul_f64 v[4:5], v[14:15], v[2:3]
	v_fmac_f64_e32 v[4:5], v[12:13], v[0:1]
	v_mul_f64 v[0:1], v[14:15], v[0:1]
	v_fma_f64 v[0:1], v[12:13], v[2:3], -v[0:1]
	v_mul_f64 v[4:5], v[4:5], s[2:3]
	v_mul_f64 v[6:7], v[0:1], s[2:3]
	global_store_dwordx4 v[8:9], v[4:7], off
	ds_read_b128 v[0:3], v196 offset:14112
	buffer_load_dword v12, off, s[40:43], 0 offset:596 ; 4-byte Folded Reload
	buffer_load_dword v13, off, s[40:43], 0 offset:600 ; 4-byte Folded Reload
	buffer_load_dword v14, off, s[40:43], 0 offset:604 ; 4-byte Folded Reload
	buffer_load_dword v15, off, s[40:43], 0 offset:608 ; 4-byte Folded Reload
	v_mad_u64_u32 v[8:9], s[6:7], s0, v197, v[8:9]
	v_add_u32_e32 v9, s4, v9
	s_waitcnt vmcnt(0) lgkmcnt(0)
	v_mul_f64 v[4:5], v[14:15], v[2:3]
	v_fmac_f64_e32 v[4:5], v[12:13], v[0:1]
	v_mul_f64 v[0:1], v[14:15], v[0:1]
	v_fma_f64 v[0:1], v[12:13], v[2:3], -v[0:1]
	v_mul_f64 v[4:5], v[4:5], s[2:3]
	v_mul_f64 v[6:7], v[0:1], s[2:3]
	global_store_dwordx4 v[8:9], v[4:7], off
	ds_read_b128 v[0:3], v196 offset:19600
	buffer_load_dword v12, off, s[40:43], 0 offset:580 ; 4-byte Folded Reload
	buffer_load_dword v13, off, s[40:43], 0 offset:584 ; 4-byte Folded Reload
	buffer_load_dword v14, off, s[40:43], 0 offset:588 ; 4-byte Folded Reload
	buffer_load_dword v15, off, s[40:43], 0 offset:592 ; 4-byte Folded Reload
	v_mad_u64_u32 v[8:9], s[6:7], s0, v197, v[8:9]
	v_add_u32_e32 v9, s4, v9
	s_waitcnt vmcnt(0) lgkmcnt(0)
	v_mul_f64 v[4:5], v[14:15], v[2:3]
	v_fmac_f64_e32 v[4:5], v[12:13], v[0:1]
	v_mul_f64 v[0:1], v[14:15], v[0:1]
	v_fma_f64 v[0:1], v[12:13], v[2:3], -v[0:1]
	v_mul_f64 v[4:5], v[4:5], s[2:3]
	v_mul_f64 v[6:7], v[0:1], s[2:3]
	global_store_dwordx4 v[8:9], v[4:7], off
	ds_read_b128 v[0:3], v196 offset:25088
	buffer_load_dword v12, off, s[40:43], 0 offset:564 ; 4-byte Folded Reload
	buffer_load_dword v13, off, s[40:43], 0 offset:568 ; 4-byte Folded Reload
	buffer_load_dword v14, off, s[40:43], 0 offset:572 ; 4-byte Folded Reload
	buffer_load_dword v15, off, s[40:43], 0 offset:576 ; 4-byte Folded Reload
	v_mad_u64_u32 v[8:9], s[6:7], s0, v197, v[8:9]
	v_add_u32_e32 v9, s4, v9
	s_waitcnt vmcnt(0) lgkmcnt(0)
	v_mul_f64 v[4:5], v[14:15], v[2:3]
	v_fmac_f64_e32 v[4:5], v[12:13], v[0:1]
	v_mul_f64 v[0:1], v[14:15], v[0:1]
	v_fma_f64 v[0:1], v[12:13], v[2:3], -v[0:1]
	v_mul_f64 v[4:5], v[4:5], s[2:3]
	v_mul_f64 v[6:7], v[0:1], s[2:3]
	global_store_dwordx4 v[8:9], v[4:7], off
	ds_read_b128 v[0:3], v196 offset:30576
	buffer_load_dword v12, off, s[40:43], 0 offset:532 ; 4-byte Folded Reload
	buffer_load_dword v13, off, s[40:43], 0 offset:536 ; 4-byte Folded Reload
	buffer_load_dword v14, off, s[40:43], 0 offset:540 ; 4-byte Folded Reload
	buffer_load_dword v15, off, s[40:43], 0 offset:544 ; 4-byte Folded Reload
	v_mad_u64_u32 v[8:9], s[6:7], s0, v197, v[8:9]
	v_add_u32_e32 v9, s4, v9
	s_waitcnt vmcnt(0) lgkmcnt(0)
	v_mul_f64 v[4:5], v[14:15], v[2:3]
	v_fmac_f64_e32 v[4:5], v[12:13], v[0:1]
	v_mul_f64 v[0:1], v[14:15], v[0:1]
	v_fma_f64 v[0:1], v[12:13], v[2:3], -v[0:1]
	v_mul_f64 v[4:5], v[4:5], s[2:3]
	v_mul_f64 v[6:7], v[0:1], s[2:3]
	global_store_dwordx4 v[8:9], v[4:7], off
	ds_read_b128 v[0:3], v196 offset:36064
	buffer_load_dword v12, off, s[40:43], 0 offset:500 ; 4-byte Folded Reload
	buffer_load_dword v13, off, s[40:43], 0 offset:504 ; 4-byte Folded Reload
	buffer_load_dword v14, off, s[40:43], 0 offset:508 ; 4-byte Folded Reload
	buffer_load_dword v15, off, s[40:43], 0 offset:512 ; 4-byte Folded Reload
	v_mad_u64_u32 v[8:9], s[6:7], s0, v197, v[8:9]
	v_add_u32_e32 v9, s4, v9
	s_waitcnt vmcnt(0) lgkmcnt(0)
	v_mul_f64 v[4:5], v[14:15], v[2:3]
	v_fmac_f64_e32 v[4:5], v[12:13], v[0:1]
	v_mul_f64 v[0:1], v[14:15], v[0:1]
	v_fma_f64 v[0:1], v[12:13], v[2:3], -v[0:1]
	v_mul_f64 v[4:5], v[4:5], s[2:3]
	v_mul_f64 v[6:7], v[0:1], s[2:3]
	global_store_dwordx4 v[8:9], v[4:7], off
	ds_read_b128 v[0:3], v196 offset:3920
	buffer_load_dword v12, off, s[40:43], 0 offset:548 ; 4-byte Folded Reload
	buffer_load_dword v13, off, s[40:43], 0 offset:552 ; 4-byte Folded Reload
	buffer_load_dword v14, off, s[40:43], 0 offset:556 ; 4-byte Folded Reload
	buffer_load_dword v15, off, s[40:43], 0 offset:560 ; 4-byte Folded Reload
	v_mad_u64_u32 v[8:9], s[6:7], s0, v10, v[8:9]
	v_add_u32_e32 v9, s1, v9
	s_waitcnt vmcnt(0) lgkmcnt(0)
	v_mul_f64 v[4:5], v[14:15], v[2:3]
	v_fmac_f64_e32 v[4:5], v[12:13], v[0:1]
	v_mul_f64 v[0:1], v[14:15], v[0:1]
	v_fma_f64 v[0:1], v[12:13], v[2:3], -v[0:1]
	v_mul_f64 v[4:5], v[4:5], s[2:3]
	v_mul_f64 v[6:7], v[0:1], s[2:3]
	global_store_dwordx4 v[8:9], v[4:7], off
	ds_read_b128 v[0:3], v196 offset:9408
	buffer_load_dword v12, off, s[40:43], 0 offset:516 ; 4-byte Folded Reload
	buffer_load_dword v13, off, s[40:43], 0 offset:520 ; 4-byte Folded Reload
	buffer_load_dword v14, off, s[40:43], 0 offset:524 ; 4-byte Folded Reload
	buffer_load_dword v15, off, s[40:43], 0 offset:528 ; 4-byte Folded Reload
	v_mad_u64_u32 v[8:9], s[6:7], s0, v197, v[8:9]
	v_add_u32_e32 v9, s4, v9
	s_waitcnt vmcnt(0) lgkmcnt(0)
	v_mul_f64 v[4:5], v[14:15], v[2:3]
	v_fmac_f64_e32 v[4:5], v[12:13], v[0:1]
	v_mul_f64 v[0:1], v[14:15], v[0:1]
	v_fma_f64 v[0:1], v[12:13], v[2:3], -v[0:1]
	v_mul_f64 v[4:5], v[4:5], s[2:3]
	v_mul_f64 v[6:7], v[0:1], s[2:3]
	global_store_dwordx4 v[8:9], v[4:7], off
	ds_read_b128 v[0:3], v196 offset:14896
	buffer_load_dword v12, off, s[40:43], 0 offset:484 ; 4-byte Folded Reload
	buffer_load_dword v13, off, s[40:43], 0 offset:488 ; 4-byte Folded Reload
	buffer_load_dword v14, off, s[40:43], 0 offset:492 ; 4-byte Folded Reload
	buffer_load_dword v15, off, s[40:43], 0 offset:496 ; 4-byte Folded Reload
	v_mad_u64_u32 v[8:9], s[6:7], s0, v197, v[8:9]
	v_add_u32_e32 v9, s4, v9
	s_waitcnt vmcnt(0) lgkmcnt(0)
	v_mul_f64 v[4:5], v[14:15], v[2:3]
	v_fmac_f64_e32 v[4:5], v[12:13], v[0:1]
	v_mul_f64 v[0:1], v[14:15], v[0:1]
	v_fma_f64 v[0:1], v[12:13], v[2:3], -v[0:1]
	v_mul_f64 v[4:5], v[4:5], s[2:3]
	v_mul_f64 v[6:7], v[0:1], s[2:3]
	global_store_dwordx4 v[8:9], v[4:7], off
	ds_read_b128 v[0:3], v196 offset:20384
	buffer_load_dword v12, off, s[40:43], 0 offset:468 ; 4-byte Folded Reload
	buffer_load_dword v13, off, s[40:43], 0 offset:472 ; 4-byte Folded Reload
	buffer_load_dword v14, off, s[40:43], 0 offset:476 ; 4-byte Folded Reload
	buffer_load_dword v15, off, s[40:43], 0 offset:480 ; 4-byte Folded Reload
	v_mad_u64_u32 v[8:9], s[6:7], s0, v197, v[8:9]
	v_add_u32_e32 v9, s4, v9
	s_waitcnt vmcnt(0) lgkmcnt(0)
	v_mul_f64 v[4:5], v[14:15], v[2:3]
	v_fmac_f64_e32 v[4:5], v[12:13], v[0:1]
	v_mul_f64 v[0:1], v[14:15], v[0:1]
	v_fma_f64 v[0:1], v[12:13], v[2:3], -v[0:1]
	v_mul_f64 v[4:5], v[4:5], s[2:3]
	v_mul_f64 v[6:7], v[0:1], s[2:3]
	global_store_dwordx4 v[8:9], v[4:7], off
	ds_read_b128 v[0:3], v196 offset:25872
	buffer_load_dword v12, off, s[40:43], 0 offset:436 ; 4-byte Folded Reload
	buffer_load_dword v13, off, s[40:43], 0 offset:440 ; 4-byte Folded Reload
	buffer_load_dword v14, off, s[40:43], 0 offset:444 ; 4-byte Folded Reload
	buffer_load_dword v15, off, s[40:43], 0 offset:448 ; 4-byte Folded Reload
	v_mad_u64_u32 v[8:9], s[6:7], s0, v197, v[8:9]
	v_add_u32_e32 v9, s4, v9
	s_waitcnt vmcnt(0) lgkmcnt(0)
	v_mul_f64 v[4:5], v[14:15], v[2:3]
	v_fmac_f64_e32 v[4:5], v[12:13], v[0:1]
	v_mul_f64 v[0:1], v[14:15], v[0:1]
	v_fma_f64 v[0:1], v[12:13], v[2:3], -v[0:1]
	v_mul_f64 v[4:5], v[4:5], s[2:3]
	v_mul_f64 v[6:7], v[0:1], s[2:3]
	global_store_dwordx4 v[8:9], v[4:7], off
	ds_read_b128 v[0:3], v196 offset:31360
	buffer_load_dword v12, off, s[40:43], 0 offset:676 ; 4-byte Folded Reload
	buffer_load_dword v13, off, s[40:43], 0 offset:680 ; 4-byte Folded Reload
	buffer_load_dword v14, off, s[40:43], 0 offset:684 ; 4-byte Folded Reload
	buffer_load_dword v15, off, s[40:43], 0 offset:688 ; 4-byte Folded Reload
	v_mad_u64_u32 v[8:9], s[6:7], s0, v197, v[8:9]
	v_add_u32_e32 v9, s4, v9
	s_waitcnt vmcnt(0) lgkmcnt(0)
	v_mul_f64 v[4:5], v[14:15], v[2:3]
	v_fmac_f64_e32 v[4:5], v[12:13], v[0:1]
	v_mul_f64 v[0:1], v[14:15], v[0:1]
	v_fma_f64 v[0:1], v[12:13], v[2:3], -v[0:1]
	v_mul_f64 v[4:5], v[4:5], s[2:3]
	v_mul_f64 v[6:7], v[0:1], s[2:3]
	global_store_dwordx4 v[8:9], v[4:7], off
	ds_read_b128 v[0:3], v196 offset:36848
	buffer_load_dword v12, off, s[40:43], 0 offset:660 ; 4-byte Folded Reload
	buffer_load_dword v13, off, s[40:43], 0 offset:664 ; 4-byte Folded Reload
	buffer_load_dword v14, off, s[40:43], 0 offset:668 ; 4-byte Folded Reload
	buffer_load_dword v15, off, s[40:43], 0 offset:672 ; 4-byte Folded Reload
	v_mad_u64_u32 v[8:9], s[6:7], s0, v197, v[8:9]
	v_add_u32_e32 v9, s4, v9
	s_waitcnt vmcnt(0) lgkmcnt(0)
	v_mul_f64 v[4:5], v[14:15], v[2:3]
	v_fmac_f64_e32 v[4:5], v[12:13], v[0:1]
	v_mul_f64 v[0:1], v[14:15], v[0:1]
	v_fma_f64 v[0:1], v[12:13], v[2:3], -v[0:1]
	v_mul_f64 v[4:5], v[4:5], s[2:3]
	v_mul_f64 v[6:7], v[0:1], s[2:3]
	global_store_dwordx4 v[8:9], v[4:7], off
	ds_read_b128 v[0:3], v196 offset:4704
	buffer_load_dword v12, off, s[40:43], 0 offset:724 ; 4-byte Folded Reload
	buffer_load_dword v13, off, s[40:43], 0 offset:728 ; 4-byte Folded Reload
	buffer_load_dword v14, off, s[40:43], 0 offset:732 ; 4-byte Folded Reload
	buffer_load_dword v15, off, s[40:43], 0 offset:736 ; 4-byte Folded Reload
	v_mad_u64_u32 v[8:9], s[6:7], s0, v10, v[8:9]
	v_add_u32_e32 v9, s1, v9
	s_waitcnt vmcnt(0) lgkmcnt(0)
	v_mul_f64 v[4:5], v[14:15], v[2:3]
	v_fmac_f64_e32 v[4:5], v[12:13], v[0:1]
	v_mul_f64 v[0:1], v[14:15], v[0:1]
	v_fma_f64 v[0:1], v[12:13], v[2:3], -v[0:1]
	v_mul_f64 v[4:5], v[4:5], s[2:3]
	v_mul_f64 v[6:7], v[0:1], s[2:3]
	global_store_dwordx4 v[8:9], v[4:7], off
	ds_read_b128 v[0:3], v196 offset:10192
	buffer_load_dword v10, off, s[40:43], 0 offset:708 ; 4-byte Folded Reload
	buffer_load_dword v11, off, s[40:43], 0 offset:712 ; 4-byte Folded Reload
	buffer_load_dword v12, off, s[40:43], 0 offset:716 ; 4-byte Folded Reload
	buffer_load_dword v13, off, s[40:43], 0 offset:720 ; 4-byte Folded Reload
	v_mad_u64_u32 v[8:9], s[6:7], s0, v197, v[8:9]
	v_add_u32_e32 v9, s4, v9
	s_waitcnt vmcnt(0) lgkmcnt(0)
	v_mul_f64 v[4:5], v[12:13], v[2:3]
	v_fmac_f64_e32 v[4:5], v[10:11], v[0:1]
	v_mul_f64 v[0:1], v[12:13], v[0:1]
	v_fma_f64 v[0:1], v[10:11], v[2:3], -v[0:1]
	v_mul_f64 v[4:5], v[4:5], s[2:3]
	v_mul_f64 v[6:7], v[0:1], s[2:3]
	global_store_dwordx4 v[8:9], v[4:7], off
	ds_read_b128 v[0:3], v196 offset:15680
	buffer_load_dword v10, off, s[40:43], 0 offset:692 ; 4-byte Folded Reload
	buffer_load_dword v11, off, s[40:43], 0 offset:696 ; 4-byte Folded Reload
	buffer_load_dword v12, off, s[40:43], 0 offset:700 ; 4-byte Folded Reload
	buffer_load_dword v13, off, s[40:43], 0 offset:704 ; 4-byte Folded Reload
	v_mad_u64_u32 v[8:9], s[6:7], s0, v197, v[8:9]
	v_add_u32_e32 v9, s4, v9
	s_waitcnt vmcnt(0) lgkmcnt(0)
	v_mul_f64 v[4:5], v[12:13], v[2:3]
	v_fmac_f64_e32 v[4:5], v[10:11], v[0:1]
	v_mul_f64 v[0:1], v[12:13], v[0:1]
	v_fma_f64 v[0:1], v[10:11], v[2:3], -v[0:1]
	v_mul_f64 v[4:5], v[4:5], s[2:3]
	v_mul_f64 v[6:7], v[0:1], s[2:3]
	global_store_dwordx4 v[8:9], v[4:7], off
	ds_read_b128 v[0:3], v196 offset:21168
	buffer_load_dword v10, off, s[40:43], 0 offset:740 ; 4-byte Folded Reload
	buffer_load_dword v11, off, s[40:43], 0 offset:744 ; 4-byte Folded Reload
	buffer_load_dword v12, off, s[40:43], 0 offset:748 ; 4-byte Folded Reload
	buffer_load_dword v13, off, s[40:43], 0 offset:752 ; 4-byte Folded Reload
	v_mad_u64_u32 v[8:9], s[6:7], s0, v197, v[8:9]
	v_add_u32_e32 v9, s4, v9
	s_waitcnt vmcnt(0) lgkmcnt(0)
	v_mul_f64 v[4:5], v[12:13], v[2:3]
	v_fmac_f64_e32 v[4:5], v[10:11], v[0:1]
	v_mul_f64 v[0:1], v[12:13], v[0:1]
	v_fma_f64 v[0:1], v[10:11], v[2:3], -v[0:1]
	v_mul_f64 v[4:5], v[4:5], s[2:3]
	v_mul_f64 v[6:7], v[0:1], s[2:3]
	global_store_dwordx4 v[8:9], v[4:7], off
	ds_read_b128 v[0:3], v196 offset:26656
	buffer_load_dword v10, off, s[40:43], 0 offset:756 ; 4-byte Folded Reload
	buffer_load_dword v11, off, s[40:43], 0 offset:760 ; 4-byte Folded Reload
	;; [unrolled: 1-line block ×4, first 2 shown]
	s_waitcnt vmcnt(0) lgkmcnt(0)
	v_mul_f64 v[4:5], v[12:13], v[2:3]
	v_fmac_f64_e32 v[4:5], v[10:11], v[0:1]
	v_mul_f64 v[0:1], v[12:13], v[0:1]
	v_fma_f64 v[0:1], v[10:11], v[2:3], -v[0:1]
	v_mad_u64_u32 v[10:11], s[6:7], s0, v197, v[8:9]
	v_mul_f64 v[4:5], v[4:5], s[2:3]
	v_mul_f64 v[6:7], v[0:1], s[2:3]
	v_add_u32_e32 v11, s4, v11
	global_store_dwordx4 v[10:11], v[4:7], off
	ds_read_b128 v[0:3], v196 offset:32144
	buffer_load_dword v12, off, s[40:43], 0 offset:796 ; 4-byte Folded Reload
	buffer_load_dword v13, off, s[40:43], 0 offset:800 ; 4-byte Folded Reload
	buffer_load_dword v14, off, s[40:43], 0 offset:804 ; 4-byte Folded Reload
	buffer_load_dword v15, off, s[40:43], 0 offset:808 ; 4-byte Folded Reload
	s_waitcnt vmcnt(0) lgkmcnt(0)
	v_mul_f64 v[4:5], v[14:15], v[2:3]
	v_fmac_f64_e32 v[4:5], v[12:13], v[0:1]
	v_mul_f64 v[0:1], v[14:15], v[0:1]
	v_mul_f64 v[6:7], v[4:5], s[2:3]
	v_fma_f64 v[0:1], v[12:13], v[2:3], -v[0:1]
	v_mad_u64_u32 v[4:5], s[6:7], s0, v197, v[10:11]
	v_mul_f64 v[8:9], v[0:1], s[2:3]
	v_add_u32_e32 v5, s4, v5
	global_store_dwordx4 v[4:5], v[6:9], off
	ds_read_b128 v[0:3], v196 offset:37632
	buffer_load_dword v8, off, s[40:43], 0 offset:452 ; 4-byte Folded Reload
	buffer_load_dword v9, off, s[40:43], 0 offset:456 ; 4-byte Folded Reload
	;; [unrolled: 1-line block ×4, first 2 shown]
	s_waitcnt vmcnt(0) lgkmcnt(0)
	v_mul_f64 v[6:7], v[10:11], v[2:3]
	v_fmac_f64_e32 v[6:7], v[8:9], v[0:1]
	v_mul_f64 v[0:1], v[10:11], v[0:1]
	v_fma_f64 v[0:1], v[8:9], v[2:3], -v[0:1]
	v_mul_f64 v[8:9], v[0:1], s[2:3]
	v_mad_u64_u32 v[0:1], s[0:1], s0, v197, v[4:5]
	v_mul_f64 v[6:7], v[6:7], s[2:3]
	v_add_u32_e32 v1, s4, v1
	global_store_dwordx4 v[0:1], v[6:9], off
.LBB0_2:
	s_endpgm
	.section	.rodata,"a",@progbits
	.p2align	6, 0x0
	.amdhsa_kernel bluestein_single_fwd_len2401_dim1_dp_op_CI_CI
		.amdhsa_group_segment_fixed_size 38416
		.amdhsa_private_segment_fixed_size 1860
		.amdhsa_kernarg_size 104
		.amdhsa_user_sgpr_count 6
		.amdhsa_user_sgpr_private_segment_buffer 1
		.amdhsa_user_sgpr_dispatch_ptr 0
		.amdhsa_user_sgpr_queue_ptr 0
		.amdhsa_user_sgpr_kernarg_segment_ptr 1
		.amdhsa_user_sgpr_dispatch_id 0
		.amdhsa_user_sgpr_flat_scratch_init 0
		.amdhsa_user_sgpr_kernarg_preload_length 0
		.amdhsa_user_sgpr_kernarg_preload_offset 0
		.amdhsa_user_sgpr_private_segment_size 0
		.amdhsa_uses_dynamic_stack 0
		.amdhsa_system_sgpr_private_segment_wavefront_offset 1
		.amdhsa_system_sgpr_workgroup_id_x 1
		.amdhsa_system_sgpr_workgroup_id_y 0
		.amdhsa_system_sgpr_workgroup_id_z 0
		.amdhsa_system_sgpr_workgroup_info 0
		.amdhsa_system_vgpr_workitem_id 0
		.amdhsa_next_free_vgpr 512
		.amdhsa_next_free_sgpr 44
		.amdhsa_accum_offset 256
		.amdhsa_reserve_vcc 1
		.amdhsa_reserve_flat_scratch 0
		.amdhsa_float_round_mode_32 0
		.amdhsa_float_round_mode_16_64 0
		.amdhsa_float_denorm_mode_32 3
		.amdhsa_float_denorm_mode_16_64 3
		.amdhsa_dx10_clamp 1
		.amdhsa_ieee_mode 1
		.amdhsa_fp16_overflow 0
		.amdhsa_tg_split 0
		.amdhsa_exception_fp_ieee_invalid_op 0
		.amdhsa_exception_fp_denorm_src 0
		.amdhsa_exception_fp_ieee_div_zero 0
		.amdhsa_exception_fp_ieee_overflow 0
		.amdhsa_exception_fp_ieee_underflow 0
		.amdhsa_exception_fp_ieee_inexact 0
		.amdhsa_exception_int_div_zero 0
	.end_amdhsa_kernel
	.text
.Lfunc_end0:
	.size	bluestein_single_fwd_len2401_dim1_dp_op_CI_CI, .Lfunc_end0-bluestein_single_fwd_len2401_dim1_dp_op_CI_CI
                                        ; -- End function
	.section	.AMDGPU.csdata,"",@progbits
; Kernel info:
; codeLenInByte = 73776
; NumSgprs: 48
; NumVgprs: 256
; NumAgprs: 256
; TotalNumVgprs: 512
; ScratchSize: 1860
; MemoryBound: 0
; FloatMode: 240
; IeeeMode: 1
; LDSByteSize: 38416 bytes/workgroup (compile time only)
; SGPRBlocks: 5
; VGPRBlocks: 63
; NumSGPRsForWavesPerEU: 48
; NumVGPRsForWavesPerEU: 512
; AccumOffset: 256
; Occupancy: 1
; WaveLimiterHint : 1
; COMPUTE_PGM_RSRC2:SCRATCH_EN: 1
; COMPUTE_PGM_RSRC2:USER_SGPR: 6
; COMPUTE_PGM_RSRC2:TRAP_HANDLER: 0
; COMPUTE_PGM_RSRC2:TGID_X_EN: 1
; COMPUTE_PGM_RSRC2:TGID_Y_EN: 0
; COMPUTE_PGM_RSRC2:TGID_Z_EN: 0
; COMPUTE_PGM_RSRC2:TIDIG_COMP_CNT: 0
; COMPUTE_PGM_RSRC3_GFX90A:ACCUM_OFFSET: 63
; COMPUTE_PGM_RSRC3_GFX90A:TG_SPLIT: 0
	.text
	.p2alignl 6, 3212836864
	.fill 256, 4, 3212836864
	.type	__hip_cuid_543289b8237551c3,@object ; @__hip_cuid_543289b8237551c3
	.section	.bss,"aw",@nobits
	.globl	__hip_cuid_543289b8237551c3
__hip_cuid_543289b8237551c3:
	.byte	0                               ; 0x0
	.size	__hip_cuid_543289b8237551c3, 1

	.ident	"AMD clang version 19.0.0git (https://github.com/RadeonOpenCompute/llvm-project roc-6.4.0 25133 c7fe45cf4b819c5991fe208aaa96edf142730f1d)"
	.section	".note.GNU-stack","",@progbits
	.addrsig
	.addrsig_sym __hip_cuid_543289b8237551c3
	.amdgpu_metadata
---
amdhsa.kernels:
  - .agpr_count:     256
    .args:
      - .actual_access:  read_only
        .address_space:  global
        .offset:         0
        .size:           8
        .value_kind:     global_buffer
      - .actual_access:  read_only
        .address_space:  global
        .offset:         8
        .size:           8
        .value_kind:     global_buffer
      - .actual_access:  read_only
        .address_space:  global
        .offset:         16
        .size:           8
        .value_kind:     global_buffer
      - .actual_access:  read_only
        .address_space:  global
        .offset:         24
        .size:           8
        .value_kind:     global_buffer
      - .actual_access:  read_only
        .address_space:  global
        .offset:         32
        .size:           8
        .value_kind:     global_buffer
      - .offset:         40
        .size:           8
        .value_kind:     by_value
      - .address_space:  global
        .offset:         48
        .size:           8
        .value_kind:     global_buffer
      - .address_space:  global
        .offset:         56
        .size:           8
        .value_kind:     global_buffer
      - .address_space:  global
        .offset:         64
        .size:           8
        .value_kind:     global_buffer
      - .address_space:  global
        .offset:         72
        .size:           8
        .value_kind:     global_buffer
      - .offset:         80
        .size:           4
        .value_kind:     by_value
      - .address_space:  global
        .offset:         88
        .size:           8
        .value_kind:     global_buffer
      - .address_space:  global
        .offset:         96
        .size:           8
        .value_kind:     global_buffer
    .group_segment_fixed_size: 38416
    .kernarg_segment_align: 8
    .kernarg_segment_size: 104
    .language:       OpenCL C
    .language_version:
      - 2
      - 0
    .max_flat_workgroup_size: 49
    .name:           bluestein_single_fwd_len2401_dim1_dp_op_CI_CI
    .private_segment_fixed_size: 1860
    .sgpr_count:     48
    .sgpr_spill_count: 0
    .symbol:         bluestein_single_fwd_len2401_dim1_dp_op_CI_CI.kd
    .uniform_work_group_size: 1
    .uses_dynamic_stack: false
    .vgpr_count:     512
    .vgpr_spill_count: 464
    .wavefront_size: 64
amdhsa.target:   amdgcn-amd-amdhsa--gfx90a
amdhsa.version:
  - 1
  - 2
...

	.end_amdgpu_metadata
